;; amdgpu-corpus repo=ROCm/rocFFT kind=compiled arch=gfx1100 opt=O3
	.text
	.amdgcn_target "amdgcn-amd-amdhsa--gfx1100"
	.amdhsa_code_object_version 6
	.protected	bluestein_single_back_len1232_dim1_dp_op_CI_CI ; -- Begin function bluestein_single_back_len1232_dim1_dp_op_CI_CI
	.globl	bluestein_single_back_len1232_dim1_dp_op_CI_CI
	.p2align	8
	.type	bluestein_single_back_len1232_dim1_dp_op_CI_CI,@function
bluestein_single_back_len1232_dim1_dp_op_CI_CI: ; @bluestein_single_back_len1232_dim1_dp_op_CI_CI
; %bb.0:
	s_load_b128 s[8:11], s[0:1], 0x28
	v_mul_u32_u24_e32 v1, 0x175, v0
	s_mov_b32 s2, exec_lo
	v_mov_b32_e32 v5, 0
	s_delay_alu instid0(VALU_DEP_2) | instskip(NEXT) | instid1(VALU_DEP_1)
	v_lshrrev_b32_e32 v1, 16, v1
	v_add_nc_u32_e32 v4, s15, v1
	s_waitcnt lgkmcnt(0)
	s_delay_alu instid0(VALU_DEP_1)
	v_cmpx_gt_u64_e64 s[8:9], v[4:5]
	s_cbranch_execz .LBB0_47
; %bb.1:
	s_clause 0x1
	s_load_b128 s[4:7], s[0:1], 0x18
	s_load_b64 s[2:3], s[0:1], 0x0
	v_mul_lo_u16 v1, 0xb0, v1
	s_delay_alu instid0(VALU_DEP_1) | instskip(NEXT) | instid1(VALU_DEP_1)
	v_sub_nc_u16 v3, v0, v1
	v_and_b32_e32 v5, 0xffff, v3
	s_waitcnt lgkmcnt(0)
	s_load_b128 s[12:15], s[4:5], 0x0
	s_waitcnt lgkmcnt(0)
	s_delay_alu instid0(VALU_DEP_1) | instskip(SKIP_4) | instid1(VALU_DEP_2)
	v_mad_u64_u32 v[12:13], null, s12, v5, 0
	v_mad_u64_u32 v[0:1], null, s14, v4, 0
	s_mul_hi_u32 s5, s12, 0x268
	s_mul_hi_u32 s9, s12, 0xfffffe48
	s_mul_i32 s8, s13, 0xfffffe48
	v_mov_b32_e32 v8, v13
	v_lshlrev_b32_e32 v2, 4, v5
	s_delay_alu instid0(VALU_DEP_1) | instskip(NEXT) | instid1(VALU_DEP_1)
	v_mad_u64_u32 v[13:14], null, s15, v4, v[1:2]
	v_mov_b32_e32 v1, v13
	v_add_co_u32 v255, s4, s2, v2
	s_delay_alu instid0(VALU_DEP_1) | instskip(NEXT) | instid1(VALU_DEP_3)
	v_add_co_ci_u32_e64 v144, null, s3, 0, s4
	v_lshlrev_b64 v[0:1], 4, v[0:1]
	s_delay_alu instid0(VALU_DEP_3) | instskip(NEXT) | instid1(VALU_DEP_3)
	v_add_co_u32 v9, vcc_lo, 0x2000, v255
	v_add_co_ci_u32_e32 v10, vcc_lo, 0, v144, vcc_lo
	v_add_co_u32 v20, vcc_lo, 0x3000, v255
	s_delay_alu instid0(VALU_DEP_3)
	v_mad_u64_u32 v[14:15], null, s13, v5, v[8:9]
	v_mov_b32_e32 v6, v4
	v_add_co_ci_u32_e32 v21, vcc_lo, 0, v144, vcc_lo
	v_add_co_u32 v16, vcc_lo, 0x1000, v255
	v_add_co_ci_u32_e32 v17, vcc_lo, 0, v144, vcc_lo
	v_mov_b32_e32 v13, v14
	v_add_co_u32 v0, vcc_lo, s10, v0
	v_add_co_ci_u32_e32 v1, vcc_lo, s11, v1, vcc_lo
	s_delay_alu instid0(VALU_DEP_3)
	v_lshlrev_b64 v[12:13], 4, v[12:13]
	s_clause 0x1
	global_load_b128 v[72:75], v2, s[2:3]
	global_load_b128 v[76:79], v2, s[2:3] offset:2816
	s_mul_i32 s3, s13, 0x268
	s_mul_i32 s2, s12, 0x268
	s_add_i32 s3, s5, s3
	s_sub_i32 s5, s9, s12
	v_add_co_u32 v0, vcc_lo, v0, v12
	v_add_co_ci_u32_e32 v1, vcc_lo, v1, v13, vcc_lo
	s_lshl_b64 s[10:11], s[2:3], 4
	s_mul_i32 s4, s12, 0xfffffe48
	s_delay_alu instid0(VALU_DEP_2)
	v_add_co_u32 v18, vcc_lo, v0, s10
	s_add_i32 s5, s5, s8
	v_add_co_ci_u32_e32 v19, vcc_lo, s11, v1, vcc_lo
	s_lshl_b64 s[2:3], s[4:5], 4
	s_clause 0x1
	scratch_store_b64 off, v[6:7], off offset:4
	scratch_store_b64 off, v[9:10], off offset:28
	v_add_co_u32 v22, vcc_lo, v18, s2
	v_add_co_ci_u32_e32 v23, vcc_lo, s3, v19, vcc_lo
	global_load_b128 v[6:9], v[9:10], off offset:1664
	v_add_co_u32 v36, vcc_lo, v22, s10
	v_add_co_ci_u32_e32 v37, vcc_lo, s11, v23, vcc_lo
	global_load_b128 v[10:13], v[20:21], off offset:384
	v_add_co_u32 v40, vcc_lo, v36, s2
	v_add_co_ci_u32_e32 v41, vcc_lo, s3, v37, vcc_lo
	s_clause 0x1
	global_load_b128 v[24:27], v[0:1], off
	global_load_b128 v[28:31], v[18:19], off
	v_add_co_u32 v0, vcc_lo, v40, s10
	global_load_b128 v[32:35], v[22:23], off
	v_add_co_ci_u32_e32 v1, vcc_lo, s11, v41, vcc_lo
	global_load_b128 v[36:39], v[36:37], off
	global_load_b128 v[14:17], v[16:17], off offset:1536
	global_load_b128 v[40:43], v[40:41], off
	global_load_b128 v[20:23], v[20:21], off offset:3200
	global_load_b128 v[44:47], v[0:1], off
	v_cmp_gt_u16_e32 vcc_lo, 0x58, v3
	s_waitcnt vmcnt(11)
	scratch_store_b128 off, v[72:75], off offset:12 ; 16-byte Folded Spill
	s_waitcnt vmcnt(10)
	scratch_store_b128 off, v[76:79], off offset:36 ; 16-byte Folded Spill
	;; [unrolled: 2-line block ×4, first 2 shown]
	s_waitcnt vmcnt(7)
	v_mul_f64 v[48:49], v[26:27], v[74:75]
	v_mul_f64 v[50:51], v[24:25], v[74:75]
	s_waitcnt vmcnt(6)
	v_mul_f64 v[52:53], v[30:31], v[8:9]
	v_mul_f64 v[54:55], v[28:29], v[8:9]
	;; [unrolled: 3-line block ×4, first 2 shown]
	v_mul_f64 v[60:61], v[38:39], v[12:13]
	v_mul_f64 v[62:63], v[36:37], v[12:13]
	s_waitcnt vmcnt(0)
	v_mul_f64 v[68:69], v[46:47], v[22:23]
	v_mul_f64 v[70:71], v[44:45], v[22:23]
	scratch_store_b128 off, v[14:17], off offset:84 ; 16-byte Folded Spill
	s_load_b64 s[8:9], s[0:1], 0x38
	s_load_b128 s[4:7], s[6:7], 0x0
	v_fma_f64 v[24:25], v[24:25], v[72:73], v[48:49]
	v_fma_f64 v[26:27], v[26:27], v[72:73], -v[50:51]
	v_fma_f64 v[28:29], v[28:29], v[6:7], v[52:53]
	v_fma_f64 v[30:31], v[30:31], v[6:7], -v[54:55]
	;; [unrolled: 2-line block ×6, first 2 shown]
	ds_store_b128 v2, v[24:27]
	ds_store_b128 v2, v[32:35] offset:2816
	ds_store_b128 v2, v[28:31] offset:9856
	;; [unrolled: 1-line block ×5, first 2 shown]
	s_and_saveexec_b32 s12, vcc_lo
	s_cbranch_execz .LBB0_3
; %bb.2:
	v_add_co_u32 v0, s2, v0, s2
	s_delay_alu instid0(VALU_DEP_1) | instskip(SKIP_1) | instid1(VALU_DEP_1)
	v_add_co_ci_u32_e64 v1, s2, s3, v1, s2
	v_add_co_u32 v32, s2, 0x4000, v255
	v_add_co_ci_u32_e64 v33, s2, 0, v144, s2
	s_delay_alu instid0(VALU_DEP_4) | instskip(NEXT) | instid1(VALU_DEP_1)
	v_add_co_u32 v36, s2, v0, s10
	v_add_co_ci_u32_e64 v37, s2, s11, v1, s2
	global_load_b128 v[24:27], v[0:1], off
	scratch_load_b64 v[0:1], off, off offset:28 ; 8-byte Folded Reload
	s_waitcnt vmcnt(0)
	s_clause 0x1
	global_load_b128 v[28:31], v[0:1], off offset:256
	global_load_b128 v[32:35], v[32:33], off offset:1920
	global_load_b128 v[36:39], v[36:37], off
	s_waitcnt vmcnt(2)
	v_mul_f64 v[0:1], v[26:27], v[30:31]
	v_mul_f64 v[30:31], v[24:25], v[30:31]
	s_waitcnt vmcnt(0)
	v_mul_f64 v[40:41], v[38:39], v[34:35]
	v_mul_f64 v[34:35], v[36:37], v[34:35]
	s_delay_alu instid0(VALU_DEP_4) | instskip(NEXT) | instid1(VALU_DEP_4)
	v_fma_f64 v[24:25], v[24:25], v[28:29], v[0:1]
	v_fma_f64 v[26:27], v[26:27], v[28:29], -v[30:31]
	s_delay_alu instid0(VALU_DEP_4) | instskip(NEXT) | instid1(VALU_DEP_4)
	v_fma_f64 v[28:29], v[36:37], v[32:33], v[40:41]
	v_fma_f64 v[30:31], v[38:39], v[32:33], -v[34:35]
	ds_store_b128 v2, v[24:27] offset:8448
	ds_store_b128 v2, v[28:31] offset:18304
.LBB0_3:
	s_or_b32 exec_lo, exec_lo, s12
	s_waitcnt lgkmcnt(0)
	s_waitcnt_vscnt null, 0x0
	s_barrier
	buffer_gl0_inv
	ds_load_b128 v[24:27], v2
	ds_load_b128 v[28:31], v2 offset:2816
	ds_load_b128 v[52:55], v2 offset:9856
	;; [unrolled: 1-line block ×5, first 2 shown]
                                        ; implicit-def: $vgpr40_vgpr41
                                        ; implicit-def: $vgpr44_vgpr45
	s_and_saveexec_b32 s2, vcc_lo
	s_cbranch_execz .LBB0_5
; %bb.4:
	ds_load_b128 v[40:43], v2 offset:8448
	ds_load_b128 v[44:47], v2 offset:18304
.LBB0_5:
	s_or_b32 exec_lo, exec_lo, s2
	s_waitcnt lgkmcnt(3)
	v_add_f64 v[52:53], v[24:25], -v[52:53]
	v_add_f64 v[54:55], v[26:27], -v[54:55]
	s_waitcnt lgkmcnt(0)
	v_add_f64 v[56:57], v[36:37], -v[32:33]
	v_add_f64 v[58:59], v[38:39], -v[34:35]
	;; [unrolled: 1-line block ×6, first 2 shown]
	s_load_b64 s[2:3], s[0:1], 0x8
	v_lshlrev_b32_e32 v0, 1, v5
	v_add_co_u32 v60, null, 0x210, v5
	s_waitcnt lgkmcnt(0)
	s_barrier
	s_delay_alu instid0(VALU_DEP_2)
	v_add_nc_u32_e32 v1, 0x160, v0
	v_add_nc_u32_e32 v88, 0x2c0, v0
	v_lshlrev_b32_e32 v4, 5, v60
	buffer_gl0_inv
	v_lshlrev_b32_e32 v6, 5, v5
	v_lshlrev_b32_e32 v7, 4, v1
	;; [unrolled: 1-line block ×3, first 2 shown]
	scratch_store_b32 off, v4, off offset:144 ; 4-byte Folded Spill
	v_lshlrev_b32_e32 v4, 4, v88
	v_fma_f64 v[44:45], v[24:25], 2.0, -v[52:53]
	v_fma_f64 v[46:47], v[26:27], 2.0, -v[54:55]
	;; [unrolled: 1-line block ×8, first 2 shown]
	ds_store_b128 v6, v[44:47]
	ds_store_b128 v6, v[52:55] offset:16
	ds_store_b128 v3, v[28:31] offset:5632
	scratch_store_b32 off, v7, off offset:104 ; 4-byte Folded Spill
	ds_store_b128 v7, v[48:51] offset:16
	ds_store_b128 v3, v[36:39] offset:11264
	scratch_store_b32 off, v4, off offset:100 ; 4-byte Folded Spill
	ds_store_b128 v4, v[56:59] offset:16
	s_and_saveexec_b32 s0, vcc_lo
	s_cbranch_execz .LBB0_7
; %bb.6:
	v_lshlrev_b32_e32 v3, 5, v60
	ds_store_b128 v3, v[24:27]
	ds_store_b128 v3, v[32:35] offset:16
.LBB0_7:
	s_or_b32 exec_lo, exec_lo, s0
	s_waitcnt lgkmcnt(0)
	s_waitcnt_vscnt null, 0x0
	s_barrier
	buffer_gl0_inv
	ds_load_b128 v[40:43], v2
	ds_load_b128 v[44:47], v2 offset:2816
	ds_load_b128 v[36:39], v2 offset:9856
	;; [unrolled: 1-line block ×5, first 2 shown]
	s_and_saveexec_b32 s0, vcc_lo
	s_cbranch_execz .LBB0_9
; %bb.8:
	ds_load_b128 v[24:27], v2 offset:8448
	ds_load_b128 v[32:35], v2 offset:18304
.LBB0_9:
	s_or_b32 exec_lo, exec_lo, s0
	v_and_b32_e32 v6, 1, v5
	v_lshlrev_b32_e32 v4, 1, v60
	s_delay_alu instid0(VALU_DEP_2)
	v_lshlrev_b32_e32 v3, 4, v6
	scratch_store_b32 off, v4, off          ; 4-byte Folded Spill
	v_and_or_b32 v4, 0x3fc, v1, v6
	global_load_b128 v[28:31], v3, s[2:3]
	v_and_or_b32 v3, 0x1fc, v0, v6
	v_and_or_b32 v6, 0x7fc, v88, v6
	v_lshlrev_b32_e32 v4, 4, v4
	s_waitcnt vmcnt(0) lgkmcnt(0)
	s_waitcnt_vscnt null, 0x0
	s_barrier
	v_lshlrev_b32_e32 v7, 4, v3
	v_lshlrev_b32_e32 v3, 4, v6
	buffer_gl0_inv
	scratch_store_b32 off, v7, off offset:116 ; 4-byte Folded Spill
	v_mul_f64 v[61:62], v[38:39], v[30:31]
	v_mul_f64 v[63:64], v[36:37], v[30:31]
	;; [unrolled: 1-line block ×8, first 2 shown]
	v_fma_f64 v[36:37], v[36:37], v[28:29], -v[61:62]
	v_fma_f64 v[38:39], v[38:39], v[28:29], v[63:64]
	v_fma_f64 v[56:57], v[56:57], v[28:29], -v[65:66]
	v_fma_f64 v[58:59], v[58:59], v[28:29], v[67:68]
	;; [unrolled: 2-line block ×4, first 2 shown]
	v_add_f64 v[32:33], v[40:41], -v[36:37]
	v_add_f64 v[34:35], v[42:43], -v[38:39]
	;; [unrolled: 1-line block ×8, first 2 shown]
	v_fma_f64 v[40:41], v[40:41], 2.0, -v[32:33]
	v_fma_f64 v[42:43], v[42:43], 2.0, -v[34:35]
	;; [unrolled: 1-line block ×8, first 2 shown]
	ds_store_b128 v7, v[40:43]
	ds_store_b128 v7, v[32:35] offset:32
	ds_store_b128 v4, v[44:47]
	scratch_store_b32 off, v4, off offset:112 ; 4-byte Folded Spill
	ds_store_b128 v4, v[52:55] offset:32
	ds_store_b128 v3, v[48:51]
	scratch_store_b32 off, v3, off offset:108 ; 4-byte Folded Spill
	ds_store_b128 v3, v[56:59] offset:32
	s_and_saveexec_b32 s0, vcc_lo
	s_cbranch_execz .LBB0_11
; %bb.10:
	scratch_load_b32 v3, off, off           ; 4-byte Folded Reload
	v_and_b32_e32 v4, 1, v5
	s_waitcnt vmcnt(0)
	s_delay_alu instid0(VALU_DEP_1) | instskip(NEXT) | instid1(VALU_DEP_1)
	v_and_or_b32 v3, 0x5fc, v3, v4
	v_lshlrev_b32_e32 v3, 4, v3
	ds_store_b128 v3, v[24:27]
	ds_store_b128 v3, v[36:39] offset:32
.LBB0_11:
	s_or_b32 exec_lo, exec_lo, s0
	s_waitcnt lgkmcnt(0)
	s_waitcnt_vscnt null, 0x0
	s_barrier
	buffer_gl0_inv
	ds_load_b128 v[44:47], v2
	ds_load_b128 v[48:51], v2 offset:2816
	ds_load_b128 v[40:43], v2 offset:9856
	;; [unrolled: 1-line block ×5, first 2 shown]
	s_and_saveexec_b32 s0, vcc_lo
	s_cbranch_execz .LBB0_13
; %bb.12:
	ds_load_b128 v[24:27], v2 offset:8448
	ds_load_b128 v[36:39], v2 offset:18304
.LBB0_13:
	s_or_b32 exec_lo, exec_lo, s0
	v_and_b32_e32 v6, 3, v5
	s_delay_alu instid0(VALU_DEP_1)
	v_lshlrev_b32_e32 v3, 4, v6
	v_and_or_b32 v4, 0x3f8, v1, v6
	global_load_b128 v[32:35], v3, s[2:3] offset:32
	v_and_or_b32 v3, 0x1f8, v0, v6
	v_and_or_b32 v6, 0x7f8, v88, v6
	v_lshlrev_b32_e32 v4, 4, v4
	s_waitcnt vmcnt(0) lgkmcnt(0)
	s_barrier
	v_lshlrev_b32_e32 v7, 4, v3
	v_lshlrev_b32_e32 v3, 4, v6
	buffer_gl0_inv
	scratch_store_b32 off, v7, off offset:128 ; 4-byte Folded Spill
	v_mul_f64 v[64:65], v[42:43], v[34:35]
	v_mul_f64 v[66:67], v[40:41], v[34:35]
	;; [unrolled: 1-line block ×8, first 2 shown]
	v_fma_f64 v[40:41], v[40:41], v[32:33], -v[64:65]
	v_fma_f64 v[42:43], v[42:43], v[32:33], v[66:67]
	v_fma_f64 v[60:61], v[60:61], v[32:33], -v[68:69]
	v_fma_f64 v[62:63], v[62:63], v[32:33], v[70:71]
	v_fma_f64 v[68:69], v[36:37], v[32:33], -v[76:77]
	v_fma_f64 v[70:71], v[38:39], v[32:33], v[78:79]
	v_fma_f64 v[64:65], v[56:57], v[32:33], -v[72:73]
	v_fma_f64 v[66:67], v[58:59], v[32:33], v[74:75]
	v_add_f64 v[36:37], v[44:45], -v[40:41]
	v_add_f64 v[38:39], v[46:47], -v[42:43]
	v_add_f64 v[56:57], v[48:49], -v[60:61]
	v_add_f64 v[58:59], v[50:51], -v[62:63]
	v_add_f64 v[40:41], v[24:25], -v[68:69]
	v_add_f64 v[42:43], v[26:27], -v[70:71]
	v_add_f64 v[60:61], v[52:53], -v[64:65]
	v_add_f64 v[62:63], v[54:55], -v[66:67]
	v_fma_f64 v[44:45], v[44:45], 2.0, -v[36:37]
	v_fma_f64 v[46:47], v[46:47], 2.0, -v[38:39]
	;; [unrolled: 1-line block ×8, first 2 shown]
	ds_store_b128 v7, v[44:47]
	ds_store_b128 v7, v[36:39] offset:64
	ds_store_b128 v4, v[48:51]
	scratch_store_b32 off, v4, off offset:124 ; 4-byte Folded Spill
	ds_store_b128 v4, v[56:59] offset:64
	ds_store_b128 v3, v[52:55]
	scratch_store_b32 off, v3, off offset:120 ; 4-byte Folded Spill
	ds_store_b128 v3, v[60:63] offset:64
	s_and_saveexec_b32 s0, vcc_lo
	s_cbranch_execz .LBB0_15
; %bb.14:
	scratch_load_b32 v3, off, off           ; 4-byte Folded Reload
	v_and_b32_e32 v4, 3, v5
	s_waitcnt vmcnt(0)
	s_delay_alu instid0(VALU_DEP_1) | instskip(NEXT) | instid1(VALU_DEP_1)
	v_and_or_b32 v3, 0x5f8, v3, v4
	v_lshlrev_b32_e32 v3, 4, v3
	ds_store_b128 v3, v[24:27]
	ds_store_b128 v3, v[40:43] offset:64
.LBB0_15:
	s_or_b32 exec_lo, exec_lo, s0
	s_waitcnt lgkmcnt(0)
	s_waitcnt_vscnt null, 0x0
	s_barrier
	buffer_gl0_inv
	ds_load_b128 v[44:47], v2
	ds_load_b128 v[48:51], v2 offset:2816
	ds_load_b128 v[52:55], v2 offset:9856
	ds_load_b128 v[60:63], v2 offset:5632
	ds_load_b128 v[64:67], v2 offset:12672
	ds_load_b128 v[56:59], v2 offset:15488
	s_and_saveexec_b32 s0, vcc_lo
	s_cbranch_execz .LBB0_17
; %bb.16:
	ds_load_b128 v[24:27], v2 offset:8448
	ds_load_b128 v[40:43], v2 offset:18304
.LBB0_17:
	s_or_b32 exec_lo, exec_lo, s0
	v_and_b32_e32 v4, 7, v5
	s_delay_alu instid0(VALU_DEP_1)
	v_lshlrev_b32_e32 v3, 4, v4
	v_and_or_b32 v0, 0x1f0, v0, v4
	v_and_or_b32 v1, 0x3f0, v1, v4
	global_load_b128 v[36:39], v3, s[2:3] offset:96
	v_and_or_b32 v3, 0x7f0, v88, v4
	v_lshlrev_b32_e32 v4, 4, v0
	v_lshlrev_b32_e32 v1, 4, v1
	s_waitcnt vmcnt(0) lgkmcnt(0)
	s_barrier
	v_lshlrev_b32_e32 v0, 4, v3
	buffer_gl0_inv
	scratch_store_b32 off, v4, off offset:140 ; 4-byte Folded Spill
	v_mul_f64 v[68:69], v[54:55], v[38:39]
	v_mul_f64 v[70:71], v[52:53], v[38:39]
	;; [unrolled: 1-line block ×8, first 2 shown]
	v_fma_f64 v[52:53], v[52:53], v[36:37], -v[68:69]
	v_fma_f64 v[54:55], v[54:55], v[36:37], v[70:71]
	v_fma_f64 v[64:65], v[64:65], v[36:37], -v[72:73]
	v_fma_f64 v[66:67], v[66:67], v[36:37], v[74:75]
	;; [unrolled: 2-line block ×4, first 2 shown]
	v_add_f64 v[40:41], v[44:45], -v[52:53]
	v_add_f64 v[42:43], v[46:47], -v[54:55]
	;; [unrolled: 1-line block ×8, first 2 shown]
	v_fma_f64 v[68:69], v[44:45], 2.0, -v[40:41]
	v_fma_f64 v[70:71], v[46:47], 2.0, -v[42:43]
	;; [unrolled: 1-line block ×8, first 2 shown]
	ds_store_b128 v4, v[68:71]
	ds_store_b128 v4, v[40:43] offset:128
	ds_store_b128 v1, v[52:55]
	scratch_store_b32 off, v1, off offset:136 ; 4-byte Folded Spill
	ds_store_b128 v1, v[56:59] offset:128
	ds_store_b128 v0, v[76:79]
	scratch_store_b32 off, v0, off offset:132 ; 4-byte Folded Spill
	ds_store_b128 v0, v[72:75] offset:128
	s_and_saveexec_b32 s0, vcc_lo
	s_cbranch_execz .LBB0_19
; %bb.18:
	scratch_load_b32 v0, off, off           ; 4-byte Folded Reload
	v_and_b32_e32 v1, 7, v5
	s_waitcnt vmcnt(0)
	s_delay_alu instid0(VALU_DEP_1) | instskip(NEXT) | instid1(VALU_DEP_1)
	v_and_or_b32 v0, 0x5f0, v0, v1
	v_lshlrev_b32_e32 v0, 4, v0
	ds_store_b128 v0, v[80:83]
	ds_store_b128 v0, v[84:87] offset:128
.LBB0_19:
	s_or_b32 exec_lo, exec_lo, s0
	v_cmp_gt_u16_e64 s0, 0x70, v5
	s_waitcnt lgkmcnt(0)
	s_waitcnt_vscnt null, 0x0
	s_barrier
	buffer_gl0_inv
                                        ; implicit-def: $vgpr88_vgpr89
                                        ; implicit-def: $vgpr60_vgpr61
                                        ; implicit-def: $vgpr64_vgpr65
	s_and_saveexec_b32 s1, s0
	s_cbranch_execz .LBB0_21
; %bb.20:
	ds_load_b128 v[68:71], v2
	ds_load_b128 v[40:43], v2 offset:1792
	ds_load_b128 v[52:55], v2 offset:3584
	;; [unrolled: 1-line block ×10, first 2 shown]
.LBB0_21:
	s_or_b32 exec_lo, exec_lo, s1
	v_and_b32_e32 v3, 15, v5
	s_mov_b32 s28, 0xf8bb580b
	s_mov_b32 s29, 0xbfe14ced
	s_mov_b32 s12, 0x8764f0ba
	s_mov_b32 s24, 0x8eee2c13
	v_mad_u64_u32 v[0:1], null, 0xa0, v3, s[2:3]
	s_mov_b32 s13, 0x3feaeb8c
	s_mov_b32 s25, 0xbfed1bb4
	;; [unrolled: 1-line block ×6, first 2 shown]
	s_clause 0x1
	global_load_b128 v[24:27], v[0:1], off offset:224
	global_load_b128 v[44:47], v[0:1], off offset:240
	s_mov_b32 s14, 0x640f44db
	s_mov_b32 s15, 0xbfc2375f
	;; [unrolled: 1-line block ×18, first 2 shown]
	s_waitcnt vmcnt(1) lgkmcnt(9)
	v_mul_f64 v[48:49], v[42:43], v[26:27]
	s_delay_alu instid0(VALU_DEP_1) | instskip(SKIP_1) | instid1(VALU_DEP_1)
	v_fma_f64 v[134:135], v[40:41], v[24:25], -v[48:49]
	v_mul_f64 v[40:41], v[40:41], v[26:27]
	v_fma_f64 v[136:137], v[42:43], v[24:25], v[40:41]
	s_clause 0x1
	global_load_b128 v[40:43], v[0:1], off offset:368
	global_load_b128 v[48:51], v[0:1], off offset:352
	s_waitcnt vmcnt(1) lgkmcnt(0)
	v_mul_f64 v[92:93], v[64:65], v[42:43]
	s_delay_alu instid0(VALU_DEP_1) | instskip(SKIP_1) | instid1(VALU_DEP_2)
	v_fma_f64 v[92:93], v[66:67], v[40:41], v[92:93]
	v_mul_f64 v[66:67], v[66:67], v[42:43]
	v_add_f64 v[195:196], v[136:137], -v[92:93]
	s_delay_alu instid0(VALU_DEP_2) | instskip(SKIP_2) | instid1(VALU_DEP_4)
	v_fma_f64 v[94:95], v[64:65], v[40:41], -v[66:67]
	v_mul_f64 v[64:65], v[54:55], v[46:47]
	v_add_f64 v[243:244], v[136:137], v[92:93]
	v_mul_f64 v[189:190], v[195:196], s[28:29]
	s_delay_alu instid0(VALU_DEP_4) | instskip(NEXT) | instid1(VALU_DEP_4)
	v_add_f64 v[191:192], v[134:135], v[94:95]
	v_fma_f64 v[120:121], v[52:53], v[44:45], -v[64:65]
	v_mul_f64 v[52:53], v[52:53], v[46:47]
	v_add_f64 v[245:246], v[134:135], -v[94:95]
	v_mul_f64 v[247:248], v[195:196], s[24:25]
	v_mul_f64 v[251:252], v[195:196], s[16:17]
	;; [unrolled: 1-line block ×3, first 2 shown]
	v_fma_f64 v[122:123], v[54:55], v[44:45], v[52:53]
	s_waitcnt vmcnt(0)
	v_mul_f64 v[52:53], v[60:61], v[50:51]
	v_mul_f64 v[241:242], v[245:246], s[28:29]
	;; [unrolled: 1-line block ×4, first 2 shown]
	s_delay_alu instid0(VALU_DEP_4) | instskip(SKIP_1) | instid1(VALU_DEP_2)
	v_fma_f64 v[116:117], v[62:63], v[48:49], v[52:53]
	v_mul_f64 v[52:53], v[62:63], v[50:51]
	v_add_f64 v[179:180], v[122:123], -v[116:117]
	s_delay_alu instid0(VALU_DEP_2)
	v_fma_f64 v[118:119], v[60:61], v[48:49], -v[52:53]
	s_clause 0x1
	global_load_b128 v[52:55], v[0:1], off offset:256
	global_load_b128 v[60:63], v[0:1], off offset:272
	v_add_f64 v[140:141], v[122:123], v[116:117]
	v_mul_f64 v[138:139], v[179:180], s[24:25]
	v_add_f64 v[151:152], v[120:121], -v[118:119]
	v_mul_f64 v[185:186], v[179:180], s[22:23]
	v_mul_f64 v[199:200], v[179:180], s[38:39]
	;; [unrolled: 1-line block ×3, first 2 shown]
	s_delay_alu instid0(VALU_DEP_4) | instskip(SKIP_3) | instid1(VALU_DEP_4)
	v_mul_f64 v[142:143], v[151:152], s[24:25]
	v_mul_f64 v[197:198], v[151:152], s[22:23]
	;; [unrolled: 1-line block ×4, first 2 shown]
	v_fma_f64 v[102:103], v[140:141], s[10:11], -v[142:143]
	s_delay_alu instid0(VALU_DEP_4) | instskip(NEXT) | instid1(VALU_DEP_4)
	v_fma_f64 v[106:107], v[140:141], s[18:19], -v[197:198]
	v_fma_f64 v[110:111], v[140:141], s[20:21], -v[213:214]
	s_delay_alu instid0(VALU_DEP_4) | instskip(SKIP_2) | instid1(VALU_DEP_1)
	v_fma_f64 v[223:224], v[140:141], s[14:15], -v[233:234]
	s_waitcnt vmcnt(1)
	v_mul_f64 v[64:65], v[58:59], v[54:55]
	v_fma_f64 v[124:125], v[56:57], v[52:53], -v[64:65]
	v_mul_f64 v[56:57], v[56:57], v[54:55]
	s_delay_alu instid0(VALU_DEP_1)
	v_fma_f64 v[126:127], v[58:59], v[52:53], v[56:57]
	s_clause 0x1
	global_load_b128 v[56:59], v[0:1], off offset:336
	global_load_b128 v[64:67], v[0:1], off offset:320
	s_waitcnt vmcnt(1)
	v_mul_f64 v[96:97], v[90:91], v[58:59]
	s_delay_alu instid0(VALU_DEP_1) | instskip(SKIP_1) | instid1(VALU_DEP_2)
	v_fma_f64 v[128:129], v[88:89], v[56:57], -v[96:97]
	v_mul_f64 v[88:89], v[88:89], v[58:59]
	v_add_f64 v[147:148], v[124:125], v[128:129]
	s_delay_alu instid0(VALU_DEP_2) | instskip(SKIP_2) | instid1(VALU_DEP_3)
	v_fma_f64 v[88:89], v[90:91], v[56:57], v[88:89]
	v_mul_f64 v[90:91], v[78:79], v[62:63]
	v_add_f64 v[169:170], v[124:125], -v[128:129]
	v_add_f64 v[183:184], v[126:127], -v[88:89]
	s_delay_alu instid0(VALU_DEP_3)
	v_fma_f64 v[130:131], v[76:77], v[60:61], -v[90:91]
	v_mul_f64 v[76:77], v[76:77], v[62:63]
	v_add_f64 v[153:154], v[126:127], v[88:89]
	v_mul_f64 v[155:156], v[169:170], s[16:17]
	v_mul_f64 v[203:204], v[169:170], s[38:39]
	;; [unrolled: 1-line block ×6, first 2 shown]
	v_fma_f64 v[132:133], v[78:79], v[60:61], v[76:77]
	s_waitcnt vmcnt(0)
	v_mul_f64 v[76:77], v[86:87], v[66:67]
	v_mul_f64 v[209:210], v[183:184], s[30:31]
	s_delay_alu instid0(VALU_DEP_2) | instskip(SKIP_1) | instid1(VALU_DEP_2)
	v_fma_f64 v[90:91], v[84:85], v[64:65], -v[76:77]
	v_mul_f64 v[76:77], v[84:85], v[66:67]
	v_add_f64 v[157:158], v[130:131], v[90:91]
	s_delay_alu instid0(VALU_DEP_2)
	v_fma_f64 v[84:85], v[86:87], v[64:65], v[76:77]
	s_clause 0x1
	global_load_b128 v[76:79], v[0:1], off offset:288
	global_load_b128 v[96:99], v[0:1], off offset:304
	v_add_f64 v[175:176], v[130:131], -v[90:91]
	s_waitcnt vmcnt(0)
	s_barrier
	buffer_gl0_inv
	v_add_f64 v[181:182], v[132:133], -v[84:85]
	v_add_f64 v[165:166], v[132:133], v[84:85]
	v_mul_f64 v[167:168], v[175:176], s[22:23]
	v_mul_f64 v[207:208], v[175:176], s[34:35]
	;; [unrolled: 1-line block ×9, first 2 shown]
	s_delay_alu instid0(VALU_DEP_1) | instskip(SKIP_1) | instid1(VALU_DEP_1)
	v_fma_f64 v[86:87], v[72:73], v[76:77], -v[0:1]
	v_mul_f64 v[0:1], v[72:73], v[78:79]
	v_fma_f64 v[74:75], v[74:75], v[76:77], v[0:1]
	v_mul_f64 v[0:1], v[82:83], v[98:99]
	s_delay_alu instid0(VALU_DEP_1) | instskip(SKIP_1) | instid1(VALU_DEP_2)
	v_fma_f64 v[72:73], v[80:81], v[96:97], -v[0:1]
	v_mul_f64 v[0:1], v[80:81], v[98:99]
	v_add_f64 v[161:162], v[86:87], v[72:73]
	s_delay_alu instid0(VALU_DEP_2) | instskip(SKIP_3) | instid1(VALU_DEP_4)
	v_fma_f64 v[80:81], v[82:83], v[96:97], v[0:1]
	v_fma_f64 v[0:1], v[191:192], s[12:13], v[189:190]
	v_add_f64 v[82:83], v[120:121], v[118:119]
	v_add_f64 v[177:178], v[86:87], -v[72:73]
	v_add_f64 v[187:188], v[74:75], -v[80:81]
	s_delay_alu instid0(VALU_DEP_4) | instskip(NEXT) | instid1(VALU_DEP_4)
	v_add_f64 v[0:1], v[68:69], v[0:1]
	v_fma_f64 v[100:101], v[82:83], s[10:11], v[138:139]
	v_add_f64 v[171:172], v[74:75], v[80:81]
	v_mul_f64 v[173:174], v[177:178], s[36:37]
	v_fma_f64 v[104:105], v[82:83], s[18:19], v[185:186]
	v_mul_f64 v[219:220], v[177:178], s[26:27]
	v_fma_f64 v[108:109], v[82:83], s[20:21], v[199:200]
	;; [unrolled: 2-line block ×3, first 2 shown]
	v_mul_f64 v[163:164], v[187:188], s[36:37]
	v_mul_f64 v[205:206], v[187:188], s[26:27]
	v_add_f64 v[0:1], v[100:101], v[0:1]
	v_fma_f64 v[100:101], v[243:244], s[12:13], -v[241:242]
	v_mul_f64 v[211:212], v[187:188], s[22:23]
	s_delay_alu instid0(VALU_DEP_2) | instskip(NEXT) | instid1(VALU_DEP_1)
	v_add_f64 v[100:101], v[70:71], v[100:101]
	v_add_f64 v[100:101], v[102:103], v[100:101]
	v_fma_f64 v[102:103], v[147:148], s[14:15], v[149:150]
	s_delay_alu instid0(VALU_DEP_1) | instskip(SKIP_1) | instid1(VALU_DEP_1)
	v_add_f64 v[0:1], v[102:103], v[0:1]
	v_fma_f64 v[102:103], v[153:154], s[14:15], -v[155:156]
	v_add_f64 v[100:101], v[102:103], v[100:101]
	v_fma_f64 v[102:103], v[157:158], s[18:19], v[159:160]
	s_delay_alu instid0(VALU_DEP_1) | instskip(SKIP_1) | instid1(VALU_DEP_1)
	v_add_f64 v[0:1], v[102:103], v[0:1]
	v_fma_f64 v[102:103], v[165:166], s[18:19], -v[167:168]
	;; [unrolled: 5-line block ×3, first 2 shown]
	v_add_f64 v[102:103], v[0:1], v[102:103]
	v_fma_f64 v[0:1], v[191:192], s[10:11], v[247:248]
	s_delay_alu instid0(VALU_DEP_1) | instskip(NEXT) | instid1(VALU_DEP_1)
	v_add_f64 v[0:1], v[68:69], v[0:1]
	v_add_f64 v[0:1], v[104:105], v[0:1]
	v_fma_f64 v[104:105], v[243:244], s[10:11], -v[249:250]
	s_delay_alu instid0(VALU_DEP_1) | instskip(NEXT) | instid1(VALU_DEP_1)
	v_add_f64 v[104:105], v[70:71], v[104:105]
	v_add_f64 v[104:105], v[106:107], v[104:105]
	v_fma_f64 v[106:107], v[147:148], s[20:21], v[193:194]
	s_delay_alu instid0(VALU_DEP_1) | instskip(SKIP_1) | instid1(VALU_DEP_1)
	v_add_f64 v[0:1], v[106:107], v[0:1]
	v_fma_f64 v[106:107], v[153:154], s[20:21], -v[203:204]
	v_add_f64 v[104:105], v[106:107], v[104:105]
	v_fma_f64 v[106:107], v[157:158], s[14:15], v[201:202]
	s_delay_alu instid0(VALU_DEP_1) | instskip(SKIP_1) | instid1(VALU_DEP_1)
	v_add_f64 v[0:1], v[106:107], v[0:1]
	v_fma_f64 v[106:107], v[165:166], s[14:15], -v[207:208]
	;; [unrolled: 5-line block ×3, first 2 shown]
	v_add_f64 v[106:107], v[0:1], v[106:107]
	v_fma_f64 v[0:1], v[191:192], s[14:15], v[251:252]
	s_delay_alu instid0(VALU_DEP_1) | instskip(NEXT) | instid1(VALU_DEP_1)
	v_add_f64 v[0:1], v[68:69], v[0:1]
	v_add_f64 v[0:1], v[108:109], v[0:1]
	v_fma_f64 v[108:109], v[243:244], s[14:15], -v[253:254]
	s_delay_alu instid0(VALU_DEP_1) | instskip(NEXT) | instid1(VALU_DEP_1)
	v_add_f64 v[108:109], v[70:71], v[108:109]
	v_add_f64 v[108:109], v[110:111], v[108:109]
	v_fma_f64 v[110:111], v[147:148], s[10:11], v[209:210]
	s_delay_alu instid0(VALU_DEP_1) | instskip(SKIP_1) | instid1(VALU_DEP_1)
	v_add_f64 v[0:1], v[110:111], v[0:1]
	v_fma_f64 v[110:111], v[153:154], s[10:11], -v[221:222]
	v_add_f64 v[108:109], v[110:111], v[108:109]
	v_fma_f64 v[110:111], v[157:158], s[12:13], v[217:218]
	s_delay_alu instid0(VALU_DEP_1) | instskip(SKIP_1) | instid1(VALU_DEP_1)
	v_add_f64 v[0:1], v[110:111], v[0:1]
	v_fma_f64 v[110:111], v[165:166], s[12:13], -v[225:226]
	v_add_f64 v[110:111], v[110:111], v[108:109]
	v_fma_f64 v[108:109], v[161:162], s[18:19], v[211:212]
	s_delay_alu instid0(VALU_DEP_1) | instskip(SKIP_1) | instid1(VALU_DEP_1)
	v_add_f64 v[108:109], v[108:109], v[0:1]
	v_fma_f64 v[0:1], v[171:172], s[18:19], -v[229:230]
	v_add_f64 v[110:111], v[0:1], v[110:111]
	v_fma_f64 v[0:1], v[191:192], s[18:19], v[145:146]
	s_delay_alu instid0(VALU_DEP_1) | instskip(NEXT) | instid1(VALU_DEP_1)
	v_add_f64 v[0:1], v[68:69], v[0:1]
	v_add_f64 v[112:113], v[112:113], v[0:1]
	v_mul_f64 v[0:1], v[245:246], s[22:23]
	s_delay_alu instid0(VALU_DEP_1) | instskip(NEXT) | instid1(VALU_DEP_1)
	v_fma_f64 v[114:115], v[243:244], s[18:19], -v[0:1]
	v_add_f64 v[114:115], v[70:71], v[114:115]
	s_delay_alu instid0(VALU_DEP_1) | instskip(SKIP_1) | instid1(VALU_DEP_1)
	v_add_f64 v[114:115], v[223:224], v[114:115]
	v_mul_f64 v[223:224], v[183:184], s[28:29]
	v_fma_f64 v[227:228], v[147:148], s[12:13], v[223:224]
	s_delay_alu instid0(VALU_DEP_1) | instskip(SKIP_1) | instid1(VALU_DEP_1)
	v_add_f64 v[112:113], v[227:228], v[112:113]
	v_fma_f64 v[227:228], v[153:154], s[12:13], -v[235:236]
	v_add_f64 v[114:115], v[227:228], v[114:115]
	v_fma_f64 v[227:228], v[157:158], s[20:21], v[231:232]
	s_delay_alu instid0(VALU_DEP_1) | instskip(SKIP_1) | instid1(VALU_DEP_1)
	v_add_f64 v[112:113], v[227:228], v[112:113]
	v_fma_f64 v[227:228], v[165:166], s[20:21], -v[237:238]
	v_add_f64 v[114:115], v[227:228], v[114:115]
	v_mul_f64 v[227:228], v[187:188], s[30:31]
	s_delay_alu instid0(VALU_DEP_1) | instskip(NEXT) | instid1(VALU_DEP_1)
	v_fma_f64 v[239:240], v[161:162], s[10:11], v[227:228]
	v_add_f64 v[112:113], v[239:240], v[112:113]
	v_mul_f64 v[239:240], v[177:178], s[30:31]
	s_delay_alu instid0(VALU_DEP_1) | instskip(NEXT) | instid1(VALU_DEP_1)
	v_fma_f64 v[3:4], v[171:172], s[10:11], -v[239:240]
	v_add_f64 v[114:115], v[3:4], v[114:115]
	s_and_saveexec_b32 s1, s0
	s_cbranch_execz .LBB0_23
; %bb.22:
	v_mul_f64 v[3:4], v[243:244], s[20:21]
	v_mul_f64 v[195:196], v[195:196], s[36:37]
	;; [unrolled: 1-line block ×6, first 2 shown]
	v_fma_f64 v[6:7], v[245:246], s[38:39], v[3:4]
	v_fma_f64 v[3:4], v[245:246], s[36:37], v[3:4]
	v_mul_f64 v[245:246], v[243:244], s[18:19]
	v_fma_f64 v[14:15], v[175:176], s[24:25], v[12:13]
	v_fma_f64 v[18:19], v[177:178], s[34:35], v[16:17]
	v_add_f64 v[6:7], v[70:71], v[6:7]
	v_add_f64 v[3:4], v[70:71], v[3:4]
	;; [unrolled: 1-line block ×3, first 2 shown]
	v_mul_f64 v[245:246], v[243:244], s[14:15]
	s_delay_alu instid0(VALU_DEP_2) | instskip(NEXT) | instid1(VALU_DEP_2)
	v_add_f64 v[0:1], v[70:71], v[0:1]
	v_add_f64 v[245:246], v[253:254], v[245:246]
	v_mul_f64 v[253:254], v[243:244], s[10:11]
	v_mul_f64 v[243:244], v[243:244], s[12:13]
	s_delay_alu instid0(VALU_DEP_2) | instskip(SKIP_1) | instid1(VALU_DEP_3)
	v_add_f64 v[249:250], v[249:250], v[253:254]
	v_mul_f64 v[253:254], v[191:192], s[10:11]
	v_add_f64 v[241:242], v[241:242], v[243:244]
	v_fma_f64 v[243:244], v[191:192], s[20:21], v[195:196]
	v_fma_f64 v[195:196], v[191:192], s[20:21], -v[195:196]
	s_delay_alu instid0(VALU_DEP_4) | instskip(SKIP_2) | instid1(VALU_DEP_4)
	v_add_f64 v[247:248], v[253:254], -v[247:248]
	v_mul_f64 v[253:254], v[191:192], s[14:15]
	v_add_f64 v[241:242], v[70:71], v[241:242]
	v_add_f64 v[195:196], v[68:69], v[195:196]
	s_delay_alu instid0(VALU_DEP_3) | instskip(SKIP_2) | instid1(VALU_DEP_2)
	v_add_f64 v[251:252], v[253:254], -v[251:252]
	v_mul_f64 v[253:254], v[191:192], s[18:19]
	v_mul_f64 v[191:192], v[191:192], s[12:13]
	v_add_f64 v[145:146], v[253:254], -v[145:146]
	s_delay_alu instid0(VALU_DEP_2)
	v_add_f64 v[189:190], v[191:192], -v[189:190]
	v_add_f64 v[191:192], v[70:71], v[136:137]
	v_add_f64 v[136:137], v[70:71], v[249:250]
	v_mul_f64 v[249:250], v[140:141], s[12:13]
	v_add_f64 v[253:254], v[68:69], v[134:135]
	v_add_f64 v[134:135], v[68:69], v[243:244]
	;; [unrolled: 1-line block ×5, first 2 shown]
	v_mul_f64 v[251:252], v[179:180], s[26:27]
	v_mul_f64 v[179:180], v[147:148], s[20:21]
	v_add_f64 v[145:146], v[68:69], v[145:146]
	v_add_f64 v[189:190], v[68:69], v[189:190]
	v_fma_f64 v[68:69], v[151:152], s[28:29], v[249:250]
	s_mov_b32 s29, 0x3fe82f19
	s_mov_b32 s28, s22
	s_delay_alu instid0(SALU_CYCLE_1) | instskip(SKIP_2) | instid1(VALU_DEP_4)
	v_fma_f64 v[10:11], v[169:170], s[28:29], v[8:9]
	v_add_f64 v[179:180], v[179:180], -v[193:194]
	v_mul_f64 v[193:194], v[171:172], s[18:19]
	v_add_f64 v[6:7], v[68:69], v[6:7]
	v_fma_f64 v[68:69], v[82:83], s[12:13], v[251:252]
	s_delay_alu instid0(VALU_DEP_3) | instskip(NEXT) | instid1(VALU_DEP_3)
	v_add_f64 v[193:194], v[229:230], v[193:194]
	v_add_f64 v[6:7], v[10:11], v[6:7]
	v_mul_f64 v[10:11], v[183:184], s[22:23]
	s_delay_alu instid0(VALU_DEP_4)
	v_add_f64 v[68:69], v[68:69], v[134:135]
	v_mul_f64 v[134:135], v[153:154], s[20:21]
	v_mul_f64 v[183:184], v[157:158], s[14:15]
	v_add_f64 v[6:7], v[14:15], v[6:7]
	v_fma_f64 v[70:71], v[147:148], s[18:19], v[10:11]
	v_mul_f64 v[14:15], v[181:182], s[30:31]
	v_add_f64 v[134:135], v[203:204], v[134:135]
	v_mul_f64 v[181:182], v[165:166], s[14:15]
	v_add_f64 v[183:184], v[183:184], -v[201:202]
	v_add_f64 v[68:69], v[70:71], v[68:69]
	v_fma_f64 v[70:71], v[157:158], s[10:11], v[14:15]
	s_delay_alu instid0(VALU_DEP_4) | instskip(NEXT) | instid1(VALU_DEP_2)
	v_add_f64 v[181:182], v[207:208], v[181:182]
	v_add_f64 v[68:69], v[70:71], v[68:69]
	;; [unrolled: 1-line block ×3, first 2 shown]
	v_fma_f64 v[6:7], v[161:162], s[14:15], v[187:188]
	v_mul_f64 v[18:19], v[82:83], s[18:19]
	s_delay_alu instid0(VALU_DEP_2) | instskip(SKIP_1) | instid1(VALU_DEP_3)
	v_add_f64 v[68:69], v[6:7], v[68:69]
	v_mul_f64 v[6:7], v[140:141], s[18:19]
	v_add_f64 v[18:19], v[18:19], -v[185:186]
	v_mul_f64 v[185:186], v[157:158], s[12:13]
	s_delay_alu instid0(VALU_DEP_3) | instskip(NEXT) | instid1(VALU_DEP_3)
	v_add_f64 v[6:7], v[197:198], v[6:7]
	v_add_f64 v[18:19], v[18:19], v[245:246]
	s_delay_alu instid0(VALU_DEP_3) | instskip(SKIP_1) | instid1(VALU_DEP_4)
	v_add_f64 v[185:186], v[185:186], -v[217:218]
	v_mul_f64 v[197:198], v[157:158], s[20:21]
	v_add_f64 v[6:7], v[6:7], v[136:137]
	v_mul_f64 v[136:137], v[171:172], s[12:13]
	v_add_f64 v[18:19], v[179:180], v[18:19]
	v_mul_f64 v[179:180], v[153:154], s[10:11]
	v_add_f64 v[197:198], v[197:198], -v[231:232]
	v_add_f64 v[6:7], v[134:135], v[6:7]
	v_add_f64 v[136:137], v[219:220], v[136:137]
	v_mul_f64 v[134:135], v[161:162], s[12:13]
	v_add_f64 v[18:19], v[183:184], v[18:19]
	v_add_f64 v[179:180], v[221:222], v[179:180]
	v_mul_f64 v[183:184], v[165:166], s[12:13]
	v_add_f64 v[6:7], v[181:182], v[6:7]
	v_mul_f64 v[181:182], v[147:148], s[10:11]
	v_add_f64 v[134:135], v[134:135], -v[205:206]
	s_delay_alu instid0(VALU_DEP_4) | instskip(NEXT) | instid1(VALU_DEP_4)
	v_add_f64 v[183:184], v[225:226], v[183:184]
	v_add_f64 v[136:137], v[136:137], v[6:7]
	v_mul_f64 v[6:7], v[140:141], s[20:21]
	s_delay_alu instid0(VALU_DEP_4) | instskip(SKIP_2) | instid1(VALU_DEP_4)
	v_add_f64 v[134:135], v[134:135], v[18:19]
	v_mul_f64 v[18:19], v[82:83], s[20:21]
	v_add_f64 v[181:182], v[181:182], -v[209:210]
	v_add_f64 v[6:7], v[213:214], v[6:7]
	s_delay_alu instid0(VALU_DEP_3) | instskip(NEXT) | instid1(VALU_DEP_2)
	v_add_f64 v[18:19], v[18:19], -v[199:200]
	v_add_f64 v[6:7], v[6:7], v[243:244]
	s_delay_alu instid0(VALU_DEP_2) | instskip(NEXT) | instid1(VALU_DEP_2)
	v_add_f64 v[18:19], v[18:19], v[247:248]
	v_add_f64 v[6:7], v[179:180], v[6:7]
	v_mul_f64 v[179:180], v[161:162], s[18:19]
	s_delay_alu instid0(VALU_DEP_3) | instskip(NEXT) | instid1(VALU_DEP_3)
	v_add_f64 v[18:19], v[181:182], v[18:19]
	v_add_f64 v[6:7], v[183:184], v[6:7]
	s_delay_alu instid0(VALU_DEP_3) | instskip(NEXT) | instid1(VALU_DEP_3)
	v_add_f64 v[179:180], v[179:180], -v[211:212]
	v_add_f64 v[18:19], v[185:186], v[18:19]
	v_mul_f64 v[183:184], v[153:154], s[12:13]
	v_mul_f64 v[185:186], v[147:148], s[12:13]
	v_add_f64 v[181:182], v[193:194], v[6:7]
	v_mul_f64 v[6:7], v[140:141], s[14:15]
	v_add_f64 v[179:180], v[179:180], v[18:19]
	;; [unrolled: 2-line block ×3, first 2 shown]
	v_mul_f64 v[193:194], v[165:166], s[20:21]
	v_add_f64 v[185:186], v[185:186], -v[223:224]
	v_add_f64 v[6:7], v[233:234], v[6:7]
	v_add_f64 v[18:19], v[18:19], -v[215:216]
	s_delay_alu instid0(VALU_DEP_4) | instskip(NEXT) | instid1(VALU_DEP_3)
	v_add_f64 v[193:194], v[237:238], v[193:194]
	v_add_f64 v[0:1], v[6:7], v[0:1]
	s_delay_alu instid0(VALU_DEP_3) | instskip(SKIP_2) | instid1(VALU_DEP_4)
	v_add_f64 v[6:7], v[18:19], v[145:146]
	v_mul_f64 v[18:19], v[171:172], s[10:11]
	v_mul_f64 v[145:146], v[161:162], s[10:11]
	v_add_f64 v[0:1], v[183:184], v[0:1]
	s_delay_alu instid0(VALU_DEP_4) | instskip(NEXT) | instid1(VALU_DEP_4)
	v_add_f64 v[6:7], v[185:186], v[6:7]
	v_add_f64 v[18:19], v[239:240], v[18:19]
	s_delay_alu instid0(VALU_DEP_4) | instskip(NEXT) | instid1(VALU_DEP_4)
	v_add_f64 v[145:146], v[145:146], -v[227:228]
	v_add_f64 v[0:1], v[193:194], v[0:1]
	s_delay_alu instid0(VALU_DEP_4) | instskip(NEXT) | instid1(VALU_DEP_2)
	v_add_f64 v[6:7], v[197:198], v[6:7]
	v_add_f64 v[185:186], v[18:19], v[0:1]
	v_fma_f64 v[0:1], v[151:152], s[26:27], v[249:250]
	s_delay_alu instid0(VALU_DEP_3)
	v_add_f64 v[183:184], v[145:146], v[6:7]
	v_fma_f64 v[6:7], v[169:170], s[22:23], v[8:9]
	v_fma_f64 v[8:9], v[175:176], s[30:31], v[12:13]
	;; [unrolled: 1-line block ×3, first 2 shown]
	v_add_f64 v[0:1], v[0:1], v[3:4]
	v_fma_f64 v[3:4], v[82:83], s[12:13], -v[251:252]
	s_delay_alu instid0(VALU_DEP_2) | instskip(NEXT) | instid1(VALU_DEP_2)
	v_add_f64 v[0:1], v[6:7], v[0:1]
	v_add_f64 v[3:4], v[3:4], v[195:196]
	v_fma_f64 v[6:7], v[147:148], s[18:19], -v[10:11]
	v_mul_f64 v[10:11], v[165:166], s[18:19]
	s_delay_alu instid0(VALU_DEP_4) | instskip(SKIP_1) | instid1(VALU_DEP_4)
	v_add_f64 v[0:1], v[8:9], v[0:1]
	v_mul_f64 v[8:9], v[147:148], s[14:15]
	v_add_f64 v[3:4], v[6:7], v[3:4]
	v_fma_f64 v[6:7], v[157:158], s[10:11], -v[14:15]
	v_add_f64 v[10:11], v[167:168], v[10:11]
	v_mul_f64 v[14:15], v[171:172], s[20:21]
	v_add_f64 v[177:178], v[12:13], v[0:1]
	v_mul_f64 v[0:1], v[140:141], s[10:11]
	v_add_f64 v[8:9], v[8:9], -v[149:150]
	v_add_f64 v[3:4], v[6:7], v[3:4]
	v_fma_f64 v[6:7], v[161:162], s[14:15], -v[187:188]
	v_mul_f64 v[12:13], v[157:158], s[18:19]
	v_add_f64 v[14:15], v[173:174], v[14:15]
	v_add_f64 v[0:1], v[142:143], v[0:1]
	s_delay_alu instid0(VALU_DEP_4) | instskip(SKIP_4) | instid1(VALU_DEP_4)
	v_add_f64 v[175:176], v[6:7], v[3:4]
	v_mul_f64 v[3:4], v[82:83], s[10:11]
	v_mul_f64 v[6:7], v[153:154], s[14:15]
	v_add_f64 v[12:13], v[12:13], -v[159:160]
	v_add_f64 v[0:1], v[0:1], v[241:242]
	v_add_f64 v[3:4], v[3:4], -v[138:139]
	s_delay_alu instid0(VALU_DEP_4) | instskip(NEXT) | instid1(VALU_DEP_2)
	v_add_f64 v[6:7], v[155:156], v[6:7]
	v_add_f64 v[3:4], v[3:4], v[189:190]
	s_delay_alu instid0(VALU_DEP_2) | instskip(SKIP_1) | instid1(VALU_DEP_3)
	v_add_f64 v[0:1], v[6:7], v[0:1]
	v_mul_f64 v[6:7], v[161:162], s[20:21]
	v_add_f64 v[3:4], v[8:9], v[3:4]
	s_delay_alu instid0(VALU_DEP_3) | instskip(NEXT) | instid1(VALU_DEP_3)
	v_add_f64 v[0:1], v[10:11], v[0:1]
	v_add_f64 v[6:7], v[6:7], -v[163:164]
	s_delay_alu instid0(VALU_DEP_3) | instskip(NEXT) | instid1(VALU_DEP_3)
	v_add_f64 v[3:4], v[12:13], v[3:4]
	v_add_f64 v[140:141], v[14:15], v[0:1]
	;; [unrolled: 1-line block ×3, first 2 shown]
	s_delay_alu instid0(VALU_DEP_3) | instskip(SKIP_1) | instid1(VALU_DEP_3)
	v_add_f64 v[138:139], v[6:7], v[3:4]
	v_add_f64 v[3:4], v[253:254], v[120:121]
	;; [unrolled: 1-line block ×3, first 2 shown]
	s_delay_alu instid0(VALU_DEP_2) | instskip(NEXT) | instid1(VALU_DEP_2)
	v_add_f64 v[3:4], v[3:4], v[124:125]
	v_add_f64 v[0:1], v[0:1], v[132:133]
	s_delay_alu instid0(VALU_DEP_2) | instskip(NEXT) | instid1(VALU_DEP_2)
	v_add_f64 v[3:4], v[3:4], v[130:131]
	v_add_f64 v[0:1], v[0:1], v[74:75]
	;; [unrolled: 3-line block ×7, first 2 shown]
	v_lshrrev_b32_e32 v0, 4, v5
	v_and_b32_e32 v1, 15, v5
	s_delay_alu instid0(VALU_DEP_2) | instskip(NEXT) | instid1(VALU_DEP_1)
	v_mul_u32_u24_e32 v0, 0xb0, v0
	v_or_b32_e32 v0, v0, v1
	s_delay_alu instid0(VALU_DEP_1)
	v_lshlrev_b32_e32 v0, 4, v0
	v_add_f64 v[72:73], v[3:4], v[94:95]
	ds_store_b128 v0, v[134:137] offset:512
	ds_store_b128 v0, v[108:111] offset:2048
	;; [unrolled: 1-line block ×9, first 2 shown]
	ds_store_b128 v0, v[72:75]
	ds_store_b128 v0, v[100:103] offset:2560
.LBB0_23:
	s_or_b32 exec_lo, exec_lo, s1
	v_mad_u64_u32 v[0:1], null, 0x60, v5, s[2:3]
	s_waitcnt lgkmcnt(0)
	s_barrier
	buffer_gl0_inv
	s_mov_b32 s2, 0x37e14327
	s_mov_b32 s3, 0x3fe948f6
	;; [unrolled: 1-line block ×3, first 2 shown]
	s_clause 0x5
	global_load_b128 v[72:75], v[0:1], off offset:2784
	global_load_b128 v[68:71], v[0:1], off offset:2800
	;; [unrolled: 1-line block ×6, first 2 shown]
	ds_load_b128 v[116:119], v2 offset:2816
	ds_load_b128 v[120:123], v2 offset:5632
	;; [unrolled: 1-line block ×6, first 2 shown]
	s_mov_b32 s12, 0xe976ee23
	s_mov_b32 s11, 0x3fac98ee
	;; [unrolled: 1-line block ×7, first 2 shown]
	s_waitcnt vmcnt(5) lgkmcnt(5)
	v_mul_f64 v[0:1], v[118:119], v[74:75]
	v_mul_f64 v[3:4], v[116:117], v[74:75]
	s_waitcnt vmcnt(4) lgkmcnt(4)
	v_mul_f64 v[6:7], v[122:123], v[70:71]
	v_mul_f64 v[8:9], v[120:121], v[70:71]
	;; [unrolled: 3-line block ×6, first 2 shown]
	v_fma_f64 v[0:1], v[116:117], v[72:73], -v[0:1]
	v_fma_f64 v[3:4], v[118:119], v[72:73], v[3:4]
	v_fma_f64 v[6:7], v[120:121], v[68:69], -v[6:7]
	v_fma_f64 v[8:9], v[122:123], v[68:69], v[8:9]
	;; [unrolled: 2-line block ×6, first 2 shown]
	v_add_f64 v[122:123], v[0:1], v[10:11]
	v_add_f64 v[124:125], v[3:4], v[12:13]
	;; [unrolled: 1-line block ×4, first 2 shown]
	v_add_f64 v[6:7], v[6:7], -v[14:15]
	v_add_f64 v[8:9], v[8:9], -v[16:17]
	v_add_f64 v[130:131], v[18:19], v[118:119]
	v_add_f64 v[132:133], v[116:117], v[120:121]
	v_add_f64 v[14:15], v[118:119], -v[18:19]
	v_add_f64 v[16:17], v[120:121], -v[116:117]
	v_add_f64 v[0:1], v[0:1], -v[10:11]
	v_add_f64 v[3:4], v[3:4], -v[12:13]
	ds_load_b128 v[116:119], v2
	v_add_f64 v[10:11], v[126:127], v[122:123]
	v_add_f64 v[12:13], v[128:129], v[124:125]
	v_add_f64 v[18:19], v[122:123], -v[130:131]
	v_add_f64 v[120:121], v[124:125], -v[132:133]
	;; [unrolled: 1-line block ×10, first 2 shown]
	v_add_f64 v[6:7], v[14:15], v[6:7]
	v_add_f64 v[8:9], v[16:17], v[8:9]
	v_add_f64 v[14:15], v[0:1], -v[14:15]
	v_add_f64 v[16:17], v[3:4], -v[16:17]
	v_add_f64 v[10:11], v[130:131], v[10:11]
	v_add_f64 v[12:13], v[132:133], v[12:13]
	v_mul_f64 v[18:19], v[18:19], s[2:3]
	v_mul_f64 v[120:121], v[120:121], s[2:3]
	s_mov_b32 s2, 0x429ad128
	v_mul_f64 v[130:131], v[134:135], s[10:11]
	v_mul_f64 v[132:133], v[136:137], s[10:11]
	;; [unrolled: 1-line block ×4, first 2 shown]
	s_mov_b32 s3, 0x3febfeb5
	s_mov_b32 s12, 0xaaaaaaaa
	v_mul_f64 v[147:148], v[142:143], s[2:3]
	v_mul_f64 v[149:150], v[145:146], s[2:3]
	s_mov_b32 s13, 0xbff2aaaa
	v_add_f64 v[0:1], v[6:7], v[0:1]
	v_add_f64 v[3:4], v[8:9], v[3:4]
	s_waitcnt lgkmcnt(0)
	v_add_f64 v[122:123], v[116:117], v[10:11]
	v_add_f64 v[124:125], v[118:119], v[12:13]
	v_fma_f64 v[6:7], v[134:135], s[10:11], v[18:19]
	v_fma_f64 v[8:9], v[136:137], s[10:11], v[120:121]
	v_fma_f64 v[116:117], v[126:127], s[14:15], -v[130:131]
	v_fma_f64 v[118:119], v[128:129], s[14:15], -v[132:133]
	s_mov_b32 s15, 0xbfe77f67
	v_fma_f64 v[130:131], v[14:15], s[16:17], v[138:139]
	v_fma_f64 v[132:133], v[16:17], s[16:17], v[140:141]
	s_mov_b32 s17, 0xbfd5d0dc
	v_fma_f64 v[134:135], v[142:143], s[2:3], -v[138:139]
	v_fma_f64 v[136:137], v[145:146], s[2:3], -v[140:141]
	;; [unrolled: 1-line block ×6, first 2 shown]
	s_mov_b32 s2, 0x37c3f68c
	s_mov_b32 s3, 0x3fdc38aa
	v_fma_f64 v[10:11], v[10:11], s[12:13], v[122:123]
	v_fma_f64 v[12:13], v[12:13], s[12:13], v[124:125]
	;; [unrolled: 1-line block ×8, first 2 shown]
	v_add_f64 v[6:7], v[6:7], v[10:11]
	v_add_f64 v[8:9], v[8:9], v[12:13]
	;; [unrolled: 1-line block ×6, first 2 shown]
	v_add_co_u32 v120, s1, 0x4d00, v255
	s_delay_alu instid0(VALU_DEP_1) | instskip(SKIP_1) | instid1(VALU_DEP_1)
	v_add_co_ci_u32_e64 v121, s1, 0, v144, s1
	v_add_co_u32 v147, s1, 0x4000, v255
	v_add_co_ci_u32_e64 v148, s1, 0, v144, s1
	v_add_f64 v[126:127], v[145:146], v[6:7]
	v_add_f64 v[128:129], v[8:9], -v[142:143]
	v_add_f64 v[130:131], v[3:4], v[14:15]
	v_add_f64 v[132:133], v[16:17], -v[0:1]
	v_add_f64 v[134:135], v[10:11], -v[138:139]
	v_add_f64 v[136:137], v[140:141], v[12:13]
	v_add_f64 v[138:139], v[138:139], v[10:11]
	v_add_f64 v[140:141], v[12:13], -v[140:141]
	v_add_f64 v[149:150], v[14:15], -v[3:4]
	v_add_f64 v[151:152], v[0:1], v[16:17]
	v_add_f64 v[116:117], v[6:7], -v[145:146]
	v_add_f64 v[118:119], v[142:143], v[8:9]
	v_add_co_u32 v0, s1, 0x7000, v255
	s_delay_alu instid0(VALU_DEP_1) | instskip(SKIP_1) | instid1(VALU_DEP_1)
	v_add_co_ci_u32_e64 v1, s1, 0, v144, s1
	v_add_co_u32 v3, s1, 0x6000, v255
	v_add_co_ci_u32_e64 v4, s1, 0, v144, s1
	v_add_co_u32 v6, s1, 0x8000, v255
	s_delay_alu instid0(VALU_DEP_1)
	v_add_co_ci_u32_e64 v7, s1, 0, v144, s1
	ds_store_b128 v2, v[122:125]
	ds_store_b128 v2, v[126:129] offset:2816
	ds_store_b128 v2, v[130:133] offset:5632
	;; [unrolled: 1-line block ×6, first 2 shown]
	s_waitcnt lgkmcnt(0)
	s_barrier
	buffer_gl0_inv
	s_clause 0x5
	global_load_b128 v[122:125], v[147:148], off offset:3328
	global_load_b128 v[126:129], v[0:1], off offset:896
	;; [unrolled: 1-line block ×6, first 2 shown]
	ds_load_b128 v[149:152], v2
	ds_load_b128 v[153:156], v2 offset:9856
	ds_load_b128 v[157:160], v2 offset:2816
	;; [unrolled: 1-line block ×5, first 2 shown]
	s_waitcnt vmcnt(5) lgkmcnt(5)
	v_mul_f64 v[0:1], v[151:152], v[124:125]
	v_mul_f64 v[3:4], v[149:150], v[124:125]
	s_waitcnt vmcnt(4) lgkmcnt(4)
	v_mul_f64 v[6:7], v[155:156], v[128:129]
	v_mul_f64 v[8:9], v[153:154], v[128:129]
	;; [unrolled: 3-line block ×6, first 2 shown]
	v_fma_f64 v[149:150], v[149:150], v[122:123], -v[0:1]
	v_fma_f64 v[151:152], v[151:152], v[122:123], v[3:4]
	v_fma_f64 v[122:123], v[153:154], v[126:127], -v[6:7]
	v_fma_f64 v[124:125], v[155:156], v[126:127], v[8:9]
	;; [unrolled: 2-line block ×6, first 2 shown]
	ds_store_b128 v2, v[149:152]
	ds_store_b128 v2, v[126:129] offset:2816
	ds_store_b128 v2, v[122:125] offset:9856
	;; [unrolled: 1-line block ×5, first 2 shown]
	s_and_saveexec_b32 s2, vcc_lo
	s_cbranch_execz .LBB0_25
; %bb.24:
	v_add_co_u32 v0, s1, 0x2000, v120
	s_delay_alu instid0(VALU_DEP_1) | instskip(SKIP_1) | instid1(VALU_DEP_1)
	v_add_co_ci_u32_e64 v1, s1, 0, v121, s1
	v_add_co_u32 v3, s1, 0x4000, v120
	v_add_co_ci_u32_e64 v4, s1, 0, v121, s1
	s_clause 0x1
	global_load_b128 v[120:123], v[0:1], off offset:256
	global_load_b128 v[124:127], v[3:4], off offset:1920
	ds_load_b128 v[128:131], v2 offset:8448
	ds_load_b128 v[132:135], v2 offset:18304
	s_waitcnt vmcnt(1) lgkmcnt(1)
	v_mul_f64 v[0:1], v[130:131], v[122:123]
	v_mul_f64 v[3:4], v[128:129], v[122:123]
	s_waitcnt vmcnt(0) lgkmcnt(0)
	v_mul_f64 v[6:7], v[134:135], v[126:127]
	v_mul_f64 v[8:9], v[132:133], v[126:127]
	s_delay_alu instid0(VALU_DEP_4) | instskip(NEXT) | instid1(VALU_DEP_4)
	v_fma_f64 v[126:127], v[128:129], v[120:121], -v[0:1]
	v_fma_f64 v[128:129], v[130:131], v[120:121], v[3:4]
	s_delay_alu instid0(VALU_DEP_4) | instskip(NEXT) | instid1(VALU_DEP_4)
	v_fma_f64 v[120:121], v[132:133], v[124:125], -v[6:7]
	v_fma_f64 v[122:123], v[134:135], v[124:125], v[8:9]
	ds_store_b128 v2, v[126:129] offset:8448
	ds_store_b128 v2, v[120:123] offset:18304
.LBB0_25:
	s_or_b32 exec_lo, exec_lo, s2
	s_waitcnt lgkmcnt(0)
	s_barrier
	buffer_gl0_inv
	ds_load_b128 v[124:127], v2
	ds_load_b128 v[128:131], v2 offset:2816
	ds_load_b128 v[140:143], v2 offset:9856
	;; [unrolled: 1-line block ×5, first 2 shown]
	s_and_saveexec_b32 s1, vcc_lo
	s_cbranch_execz .LBB0_27
; %bb.26:
	ds_load_b128 v[116:119], v2 offset:8448
	ds_load_b128 v[112:115], v2 offset:18304
.LBB0_27:
	s_or_b32 exec_lo, exec_lo, s1
	s_waitcnt lgkmcnt(3)
	v_add_f64 v[140:141], v[124:125], -v[140:141]
	v_add_f64 v[142:143], v[126:127], -v[142:143]
	v_lshlrev_b32_e32 v0, 5, v5
	s_waitcnt lgkmcnt(0)
	s_barrier
	buffer_gl0_inv
	v_add_f64 v[136:137], v[128:129], -v[136:137]
	v_add_f64 v[138:139], v[130:131], -v[138:139]
	;; [unrolled: 1-line block ×6, first 2 shown]
	v_fma_f64 v[124:125], v[124:125], 2.0, -v[140:141]
	v_fma_f64 v[126:127], v[126:127], 2.0, -v[142:143]
	ds_store_b128 v0, v[124:127]
	ds_store_b128 v0, v[140:143] offset:16
	scratch_load_b32 v0, off, off offset:104 ; 4-byte Folded Reload
	v_fma_f64 v[128:129], v[128:129], 2.0, -v[136:137]
	v_fma_f64 v[130:131], v[130:131], 2.0, -v[138:139]
	;; [unrolled: 1-line block ×6, first 2 shown]
	s_waitcnt vmcnt(0)
	ds_store_b128 v0, v[128:131]
	ds_store_b128 v0, v[136:139] offset:16
	scratch_load_b32 v0, off, off offset:100 ; 4-byte Folded Reload
	s_waitcnt vmcnt(0)
	ds_store_b128 v0, v[132:135]
	ds_store_b128 v0, v[149:152] offset:16
	s_and_saveexec_b32 s1, vcc_lo
	s_cbranch_execz .LBB0_29
; %bb.28:
	scratch_load_b32 v0, off, off offset:144 ; 4-byte Folded Reload
	s_waitcnt vmcnt(0)
	ds_store_b128 v0, v[112:115]
	ds_store_b128 v0, v[120:123] offset:16
.LBB0_29:
	s_or_b32 exec_lo, exec_lo, s1
	s_waitcnt lgkmcnt(0)
	s_barrier
	buffer_gl0_inv
	ds_load_b128 v[124:127], v2
	ds_load_b128 v[128:131], v2 offset:2816
	ds_load_b128 v[116:119], v2 offset:9856
	;; [unrolled: 1-line block ×5, first 2 shown]
	s_and_saveexec_b32 s1, vcc_lo
	s_cbranch_execz .LBB0_31
; %bb.30:
	ds_load_b128 v[112:115], v2 offset:8448
	ds_load_b128 v[120:123], v2 offset:18304
.LBB0_31:
	s_or_b32 exec_lo, exec_lo, s1
	s_waitcnt lgkmcnt(3)
	v_mul_f64 v[0:1], v[30:31], v[118:119]
	s_waitcnt lgkmcnt(0)
	v_mul_f64 v[14:15], v[30:31], v[122:123]
	v_mul_f64 v[16:17], v[30:31], v[120:121]
	s_barrier
	buffer_gl0_inv
	v_mul_f64 v[3:4], v[30:31], v[116:117]
	v_mul_f64 v[6:7], v[30:31], v[142:143]
	;; [unrolled: 1-line block ×5, first 2 shown]
	v_fma_f64 v[0:1], v[28:29], v[116:117], v[0:1]
	v_fma_f64 v[14:15], v[28:29], v[120:121], v[14:15]
	v_fma_f64 v[16:17], v[28:29], v[122:123], -v[16:17]
	v_fma_f64 v[3:4], v[28:29], v[118:119], -v[3:4]
	v_fma_f64 v[6:7], v[28:29], v[140:141], v[6:7]
	v_fma_f64 v[8:9], v[28:29], v[142:143], -v[8:9]
	v_fma_f64 v[10:11], v[28:29], v[136:137], v[10:11]
	v_fma_f64 v[12:13], v[28:29], v[138:139], -v[12:13]
	v_add_f64 v[120:121], v[124:125], -v[0:1]
	scratch_load_b32 v0, off, off offset:116 ; 4-byte Folded Reload
	v_add_f64 v[116:117], v[112:113], -v[14:15]
	v_add_f64 v[118:119], v[114:115], -v[16:17]
	;; [unrolled: 1-line block ×7, first 2 shown]
	v_fma_f64 v[124:125], v[124:125], 2.0, -v[120:121]
	v_fma_f64 v[28:29], v[112:113], 2.0, -v[116:117]
	;; [unrolled: 1-line block ×8, first 2 shown]
	s_waitcnt vmcnt(0)
	ds_store_b128 v0, v[124:127]
	ds_store_b128 v0, v[120:123] offset:32
	scratch_load_b32 v0, off, off offset:112 ; 4-byte Folded Reload
	s_waitcnt vmcnt(0)
	ds_store_b128 v0, v[128:131]
	ds_store_b128 v0, v[136:139] offset:32
	scratch_load_b32 v0, off, off offset:108 ; 4-byte Folded Reload
	s_waitcnt vmcnt(0)
	ds_store_b128 v0, v[132:135]
	ds_store_b128 v0, v[140:143] offset:32
	s_and_saveexec_b32 s1, vcc_lo
	s_cbranch_execz .LBB0_33
; %bb.32:
	scratch_load_b32 v0, off, off           ; 4-byte Folded Reload
	v_and_b32_e32 v1, 1, v5
	s_waitcnt vmcnt(0)
	s_delay_alu instid0(VALU_DEP_1) | instskip(NEXT) | instid1(VALU_DEP_1)
	v_and_or_b32 v0, 0x5fc, v0, v1
	v_lshlrev_b32_e32 v0, 4, v0
	ds_store_b128 v0, v[28:31]
	ds_store_b128 v0, v[116:119] offset:32
.LBB0_33:
	s_or_b32 exec_lo, exec_lo, s1
	s_waitcnt lgkmcnt(0)
	s_barrier
	buffer_gl0_inv
	ds_load_b128 v[112:115], v2
	ds_load_b128 v[120:123], v2 offset:2816
	ds_load_b128 v[128:131], v2 offset:9856
	;; [unrolled: 1-line block ×5, first 2 shown]
	s_and_saveexec_b32 s1, vcc_lo
	s_cbranch_execz .LBB0_35
; %bb.34:
	ds_load_b128 v[28:31], v2 offset:8448
	ds_load_b128 v[116:119], v2 offset:18304
.LBB0_35:
	s_or_b32 exec_lo, exec_lo, s1
	s_waitcnt lgkmcnt(3)
	v_mul_f64 v[0:1], v[34:35], v[130:131]
	s_waitcnt lgkmcnt(0)
	v_mul_f64 v[14:15], v[34:35], v[118:119]
	v_mul_f64 v[16:17], v[34:35], v[116:117]
	s_barrier
	buffer_gl0_inv
	v_mul_f64 v[3:4], v[34:35], v[128:129]
	v_mul_f64 v[6:7], v[34:35], v[138:139]
	;; [unrolled: 1-line block ×5, first 2 shown]
	v_fma_f64 v[0:1], v[32:33], v[128:129], v[0:1]
	v_fma_f64 v[14:15], v[32:33], v[116:117], v[14:15]
	v_fma_f64 v[16:17], v[32:33], v[118:119], -v[16:17]
	v_fma_f64 v[3:4], v[32:33], v[130:131], -v[3:4]
	v_fma_f64 v[6:7], v[32:33], v[136:137], v[6:7]
	v_fma_f64 v[8:9], v[32:33], v[138:139], -v[8:9]
	v_fma_f64 v[10:11], v[32:33], v[132:133], v[10:11]
	v_fma_f64 v[12:13], v[32:33], v[134:135], -v[12:13]
	v_add_f64 v[116:117], v[112:113], -v[0:1]
	scratch_load_b32 v0, off, off offset:128 ; 4-byte Folded Reload
	v_add_f64 v[32:33], v[28:29], -v[14:15]
	v_add_f64 v[34:35], v[30:31], -v[16:17]
	;; [unrolled: 1-line block ×7, first 2 shown]
	v_fma_f64 v[112:113], v[112:113], 2.0, -v[116:117]
	v_fma_f64 v[128:129], v[28:29], 2.0, -v[32:33]
	;; [unrolled: 1-line block ×8, first 2 shown]
	s_waitcnt vmcnt(0)
	ds_store_b128 v0, v[112:115]
	ds_store_b128 v0, v[116:119] offset:64
	scratch_load_b32 v0, off, off offset:124 ; 4-byte Folded Reload
	s_waitcnt vmcnt(0)
	ds_store_b128 v0, v[120:123]
	ds_store_b128 v0, v[132:135] offset:64
	scratch_load_b32 v0, off, off offset:120 ; 4-byte Folded Reload
	s_waitcnt vmcnt(0)
	ds_store_b128 v0, v[124:127]
	ds_store_b128 v0, v[136:139] offset:64
	s_and_saveexec_b32 s1, vcc_lo
	s_cbranch_execz .LBB0_37
; %bb.36:
	scratch_load_b32 v0, off, off           ; 4-byte Folded Reload
	v_and_b32_e32 v1, 3, v5
	s_waitcnt vmcnt(0)
	s_delay_alu instid0(VALU_DEP_1) | instskip(NEXT) | instid1(VALU_DEP_1)
	v_and_or_b32 v0, 0x5f8, v0, v1
	v_lshlrev_b32_e32 v0, 4, v0
	ds_store_b128 v0, v[128:131]
	ds_store_b128 v0, v[32:35] offset:64
.LBB0_37:
	s_or_b32 exec_lo, exec_lo, s1
	s_waitcnt lgkmcnt(0)
	s_barrier
	buffer_gl0_inv
	ds_load_b128 v[28:31], v2
	ds_load_b128 v[112:115], v2 offset:2816
	ds_load_b128 v[120:123], v2 offset:9856
	;; [unrolled: 1-line block ×5, first 2 shown]
	s_and_saveexec_b32 s1, vcc_lo
	s_cbranch_execz .LBB0_39
; %bb.38:
	ds_load_b128 v[128:131], v2 offset:8448
	ds_load_b128 v[32:35], v2 offset:18304
.LBB0_39:
	s_or_b32 exec_lo, exec_lo, s1
	s_waitcnt lgkmcnt(3)
	v_mul_f64 v[0:1], v[38:39], v[122:123]
	s_waitcnt lgkmcnt(0)
	v_mul_f64 v[14:15], v[38:39], v[34:35]
	v_mul_f64 v[16:17], v[38:39], v[32:33]
	s_barrier
	buffer_gl0_inv
	v_mul_f64 v[3:4], v[38:39], v[120:121]
	v_mul_f64 v[6:7], v[38:39], v[134:135]
	;; [unrolled: 1-line block ×5, first 2 shown]
	v_fma_f64 v[0:1], v[36:37], v[120:121], v[0:1]
	v_fma_f64 v[14:15], v[36:37], v[32:33], v[14:15]
	v_fma_f64 v[16:17], v[36:37], v[34:35], -v[16:17]
	v_fma_f64 v[3:4], v[36:37], v[122:123], -v[3:4]
	v_fma_f64 v[6:7], v[36:37], v[132:133], v[6:7]
	v_fma_f64 v[8:9], v[36:37], v[134:135], -v[8:9]
	v_fma_f64 v[10:11], v[36:37], v[124:125], v[10:11]
	v_fma_f64 v[12:13], v[36:37], v[126:127], -v[12:13]
	v_add_f64 v[32:33], v[28:29], -v[0:1]
	scratch_load_b32 v0, off, off offset:140 ; 4-byte Folded Reload
	v_add_f64 v[124:125], v[128:129], -v[14:15]
	v_add_f64 v[126:127], v[130:131], -v[16:17]
	;; [unrolled: 1-line block ×7, first 2 shown]
	v_fma_f64 v[28:29], v[28:29], 2.0, -v[32:33]
	v_fma_f64 v[128:129], v[128:129], 2.0, -v[124:125]
	;; [unrolled: 1-line block ×8, first 2 shown]
	s_waitcnt vmcnt(0)
	ds_store_b128 v0, v[28:31]
	ds_store_b128 v0, v[32:35] offset:128
	scratch_load_b32 v0, off, off offset:136 ; 4-byte Folded Reload
	s_waitcnt vmcnt(0)
	ds_store_b128 v0, v[112:115]
	ds_store_b128 v0, v[36:39] offset:128
	scratch_load_b32 v0, off, off offset:132 ; 4-byte Folded Reload
	s_waitcnt vmcnt(0)
	ds_store_b128 v0, v[116:119]
	ds_store_b128 v0, v[120:123] offset:128
	s_and_saveexec_b32 s1, vcc_lo
	s_cbranch_execz .LBB0_41
; %bb.40:
	scratch_load_b32 v0, off, off           ; 4-byte Folded Reload
	v_and_b32_e32 v1, 7, v5
	s_waitcnt vmcnt(0)
	s_delay_alu instid0(VALU_DEP_1) | instskip(NEXT) | instid1(VALU_DEP_1)
	v_and_or_b32 v0, 0x5f0, v0, v1
	v_lshlrev_b32_e32 v0, 4, v0
	ds_store_b128 v0, v[128:131]
	ds_store_b128 v0, v[124:127] offset:128
.LBB0_41:
	s_or_b32 exec_lo, exec_lo, s1
	s_waitcnt lgkmcnt(0)
	s_barrier
	buffer_gl0_inv
	s_and_saveexec_b32 s1, s0
	s_cbranch_execz .LBB0_43
; %bb.42:
	ds_load_b128 v[28:31], v2
	ds_load_b128 v[32:35], v2 offset:1792
	ds_load_b128 v[112:115], v2 offset:3584
	;; [unrolled: 1-line block ×10, first 2 shown]
.LBB0_43:
	s_or_b32 exec_lo, exec_lo, s1
	s_waitcnt lgkmcnt(0)
	s_barrier
	buffer_gl0_inv
	s_and_saveexec_b32 s30, s0
	s_cbranch_execz .LBB0_45
; %bb.44:
	v_mul_f64 v[0:1], v[26:27], v[32:33]
	s_mov_b32 s25, 0x3fed1bb4
	s_mov_b32 s24, 0x8eee2c13
	;; [unrolled: 1-line block ×26, first 2 shown]
	s_delay_alu instid0(VALU_DEP_1) | instskip(SKIP_1) | instid1(VALU_DEP_1)
	v_fma_f64 v[132:133], v[24:25], v[34:35], -v[0:1]
	v_mul_f64 v[0:1], v[26:27], v[34:35]
	v_fma_f64 v[134:135], v[24:25], v[32:33], v[0:1]
	v_mul_f64 v[0:1], v[78:79], v[122:123]
	s_delay_alu instid0(VALU_DEP_1) | instskip(SKIP_1) | instid1(VALU_DEP_1)
	v_fma_f64 v[24:25], v[76:77], v[120:121], v[0:1]
	v_mul_f64 v[0:1], v[78:79], v[120:121]
	v_fma_f64 v[32:33], v[76:77], v[122:123], -v[0:1]
	v_mul_f64 v[0:1], v[98:99], v[130:131]
	s_delay_alu instid0(VALU_DEP_1) | instskip(SKIP_1) | instid1(VALU_DEP_2)
	v_fma_f64 v[26:27], v[96:97], v[128:129], v[0:1]
	v_mul_f64 v[0:1], v[98:99], v[128:129]
	v_add_f64 v[6:7], v[24:25], -v[26:27]
	s_delay_alu instid0(VALU_DEP_2) | instskip(SKIP_2) | instid1(VALU_DEP_4)
	v_fma_f64 v[34:35], v[96:97], v[130:131], -v[0:1]
	v_mul_f64 v[0:1], v[62:63], v[118:119]
	v_add_f64 v[171:172], v[24:25], v[26:27]
	v_mul_f64 v[18:19], v[6:7], s[24:25]
	s_delay_alu instid0(VALU_DEP_4) | instskip(NEXT) | instid1(VALU_DEP_4)
	v_add_f64 v[8:9], v[32:33], -v[34:35]
	v_fma_f64 v[76:77], v[60:61], v[116:117], v[0:1]
	v_mul_f64 v[0:1], v[62:63], v[116:117]
	v_add_f64 v[169:170], v[32:33], v[34:35]
	s_delay_alu instid0(VALU_DEP_2) | instskip(SKIP_1) | instid1(VALU_DEP_1)
	v_fma_f64 v[78:79], v[60:61], v[118:119], -v[0:1]
	v_mul_f64 v[0:1], v[66:67], v[126:127]
	v_fma_f64 v[60:61], v[64:65], v[124:125], v[0:1]
	v_mul_f64 v[0:1], v[66:67], v[124:125]
	s_delay_alu instid0(VALU_DEP_2) | instskip(NEXT) | instid1(VALU_DEP_2)
	v_add_f64 v[167:168], v[76:77], v[60:61]
	v_fma_f64 v[62:63], v[64:65], v[126:127], -v[0:1]
	v_mul_f64 v[0:1], v[54:55], v[38:39]
	s_delay_alu instid0(VALU_DEP_2) | instskip(NEXT) | instid1(VALU_DEP_2)
	v_add_f64 v[3:4], v[78:79], -v[62:63]
	v_fma_f64 v[64:65], v[52:53], v[36:37], v[0:1]
	v_mul_f64 v[0:1], v[54:55], v[36:37]
	v_add_f64 v[165:166], v[78:79], v[62:63]
	s_delay_alu instid0(VALU_DEP_4) | instskip(NEXT) | instid1(VALU_DEP_3)
	v_mul_f64 v[16:17], v[3:4], s[24:25]
	v_fma_f64 v[52:53], v[52:53], v[38:39], -v[0:1]
	v_mul_f64 v[0:1], v[58:59], v[110:111]
	s_delay_alu instid0(VALU_DEP_1) | instskip(SKIP_1) | instid1(VALU_DEP_2)
	v_fma_f64 v[36:37], v[56:57], v[108:109], v[0:1]
	v_mul_f64 v[0:1], v[58:59], v[108:109]
	v_add_f64 v[10:11], v[64:65], -v[36:37]
	s_delay_alu instid0(VALU_DEP_2) | instskip(SKIP_2) | instid1(VALU_DEP_3)
	v_fma_f64 v[38:39], v[56:57], v[110:111], -v[0:1]
	v_mul_f64 v[0:1], v[46:47], v[114:115]
	v_add_f64 v[163:164], v[64:65], v[36:37]
	v_add_f64 v[12:13], v[52:53], -v[38:39]
	s_delay_alu instid0(VALU_DEP_3) | instskip(SKIP_2) | instid1(VALU_DEP_4)
	v_fma_f64 v[54:55], v[44:45], v[112:113], v[0:1]
	v_mul_f64 v[0:1], v[46:47], v[112:113]
	v_add_f64 v[161:162], v[52:53], v[38:39]
	v_mul_f64 v[58:59], v[12:13], s[24:25]
	s_delay_alu instid0(VALU_DEP_3) | instskip(SKIP_1) | instid1(VALU_DEP_1)
	v_fma_f64 v[56:57], v[44:45], v[114:115], -v[0:1]
	v_mul_f64 v[0:1], v[50:51], v[106:107]
	v_fma_f64 v[44:45], v[48:49], v[104:105], v[0:1]
	v_mul_f64 v[0:1], v[50:51], v[104:105]
	v_mul_f64 v[50:51], v[10:11], s[24:25]
	s_delay_alu instid0(VALU_DEP_3) | instskip(NEXT) | instid1(VALU_DEP_3)
	v_add_f64 v[153:154], v[54:55], -v[44:45]
	v_fma_f64 v[48:49], v[48:49], v[106:107], -v[0:1]
	v_mul_f64 v[0:1], v[42:43], v[102:103]
	v_add_f64 v[159:160], v[54:55], v[44:45]
	s_delay_alu instid0(VALU_DEP_3) | instskip(NEXT) | instid1(VALU_DEP_3)
	v_add_f64 v[155:156], v[56:57], v[48:49]
	v_fma_f64 v[46:47], v[40:41], v[100:101], v[0:1]
	v_mul_f64 v[0:1], v[42:43], v[100:101]
	v_mul_f64 v[42:43], v[8:9], s[24:25]
	v_add_f64 v[157:158], v[56:57], -v[48:49]
	s_delay_alu instid0(VALU_DEP_4) | instskip(NEXT) | instid1(VALU_DEP_4)
	v_add_f64 v[66:67], v[134:135], -v[46:47]
	v_fma_f64 v[40:41], v[40:41], v[102:103], -v[0:1]
	v_add_f64 v[0:1], v[76:77], -v[60:61]
	v_add_f64 v[124:125], v[134:135], v[46:47]
	v_add_f64 v[134:135], v[28:29], v[134:135]
	v_mul_f64 v[96:97], v[66:67], s[22:23]
	v_mul_f64 v[98:99], v[66:67], s[18:19]
	;; [unrolled: 1-line block ×3, first 2 shown]
	s_mov_b32 s25, 0xbfed1bb4
	v_mul_f64 v[100:101], v[66:67], s[20:21]
	v_mul_f64 v[102:103], v[66:67], s[26:27]
	;; [unrolled: 1-line block ×3, first 2 shown]
	v_add_f64 v[104:105], v[132:133], v[40:41]
	s_delay_alu instid0(VALU_DEP_1)
	v_fma_f64 v[106:107], v[104:105], s[12:13], v[96:97]
	v_fma_f64 v[96:97], v[104:105], s[12:13], -v[96:97]
	v_fma_f64 v[108:109], v[104:105], s[10:11], v[98:99]
	v_fma_f64 v[98:99], v[104:105], s[10:11], -v[98:99]
	;; [unrolled: 2-line block ×4, first 2 shown]
	v_fma_f64 v[114:115], v[104:105], s[2:3], -v[66:67]
	v_fma_f64 v[66:67], v[104:105], s[2:3], v[66:67]
	v_add_f64 v[104:105], v[132:133], -v[40:41]
	v_add_f64 v[132:133], v[30:31], v[132:133]
	v_add_f64 v[106:107], v[30:31], v[106:107]
	;; [unrolled: 1-line block ×6, first 2 shown]
	v_mul_f64 v[100:101], v[157:158], s[16:17]
	v_add_f64 v[144:145], v[30:31], v[102:103]
	v_mul_f64 v[102:103], v[10:11], s[18:19]
	v_add_f64 v[142:143], v[30:31], v[112:113]
	v_mul_f64 v[116:117], v[104:105], s[22:23]
	v_mul_f64 v[118:119], v[104:105], s[18:19]
	;; [unrolled: 1-line block ×5, first 2 shown]
	v_add_f64 v[66:67], v[30:31], v[66:67]
	v_mul_f64 v[112:113], v[6:7], s[20:21]
	v_fma_f64 v[126:127], v[124:125], s[12:13], -v[116:117]
	v_fma_f64 v[128:129], v[124:125], s[10:11], -v[118:119]
	v_fma_f64 v[116:117], v[124:125], s[12:13], v[116:117]
	v_fma_f64 v[118:119], v[124:125], s[10:11], v[118:119]
	v_fma_f64 v[130:131], v[124:125], s[0:1], -v[120:121]
	v_fma_f64 v[120:121], v[124:125], s[0:1], v[120:121]
	v_fma_f64 v[136:137], v[124:125], s[14:15], v[122:123]
	v_fma_f64 v[122:123], v[124:125], s[14:15], -v[122:123]
	v_fma_f64 v[138:139], v[124:125], s[2:3], v[104:105]
	v_fma_f64 v[104:105], v[124:125], s[2:3], -v[104:105]
	v_add_f64 v[124:125], v[28:29], v[126:127]
	v_add_f64 v[126:127], v[28:29], v[128:129]
	;; [unrolled: 1-line block ×3, first 2 shown]
	v_mul_f64 v[98:99], v[153:154], s[16:17]
	v_add_f64 v[116:117], v[28:29], v[116:117]
	v_add_f64 v[118:119], v[28:29], v[118:119]
	;; [unrolled: 1-line block ×8, first 2 shown]
	v_fma_f64 v[104:105], v[161:162], s[10:11], v[102:103]
	v_add_f64 v[122:123], v[30:31], v[114:115]
	v_fma_f64 v[30:31], v[159:160], s[14:15], -v[100:101]
	v_mul_f64 v[114:115], v[8:9], s[20:21]
	v_fma_f64 v[28:29], v[155:156], s[14:15], v[98:99]
	v_fma_f64 v[98:99], v[155:156], s[14:15], -v[98:99]
	s_delay_alu instid0(VALU_DEP_4) | instskip(SKIP_1) | instid1(VALU_DEP_4)
	v_add_f64 v[30:31], v[30:31], v[124:125]
	v_mul_f64 v[124:125], v[157:158], s[18:19]
	v_add_f64 v[28:29], v[28:29], v[106:107]
	s_delay_alu instid0(VALU_DEP_4) | instskip(SKIP_2) | instid1(VALU_DEP_4)
	v_add_f64 v[96:97], v[98:99], v[96:97]
	v_fma_f64 v[98:99], v[159:160], s[14:15], v[100:101]
	v_fma_f64 v[100:101], v[161:162], s[10:11], -v[102:103]
	v_add_f64 v[28:29], v[104:105], v[28:29]
	v_mul_f64 v[104:105], v[12:13], s[18:19]
	s_delay_alu instid0(VALU_DEP_4) | instskip(NEXT) | instid1(VALU_DEP_4)
	v_add_f64 v[98:99], v[98:99], v[116:117]
	v_add_f64 v[96:97], v[100:101], v[96:97]
	v_mul_f64 v[116:117], v[6:7], s[18:19]
	s_delay_alu instid0(VALU_DEP_4) | instskip(SKIP_2) | instid1(VALU_DEP_3)
	v_fma_f64 v[106:107], v[163:164], s[10:11], -v[104:105]
	v_fma_f64 v[100:101], v[163:164], s[10:11], v[104:105]
	v_mul_f64 v[104:105], v[157:158], s[28:29]
	v_add_f64 v[30:31], v[106:107], v[30:31]
	v_fma_f64 v[106:107], v[165:166], s[2:3], v[14:15]
	v_fma_f64 v[14:15], v[165:166], s[2:3], -v[14:15]
	v_add_f64 v[98:99], v[100:101], v[98:99]
	v_fma_f64 v[100:101], v[171:172], s[0:1], v[114:115]
	s_delay_alu instid0(VALU_DEP_4) | instskip(SKIP_4) | instid1(VALU_DEP_4)
	v_add_f64 v[28:29], v[106:107], v[28:29]
	v_fma_f64 v[106:107], v[167:168], s[2:3], -v[16:17]
	v_add_f64 v[14:15], v[14:15], v[96:97]
	v_fma_f64 v[16:17], v[167:168], s[2:3], v[16:17]
	v_fma_f64 v[96:97], v[169:170], s[0:1], -v[112:113]
	v_add_f64 v[106:107], v[106:107], v[30:31]
	v_fma_f64 v[30:31], v[169:170], s[0:1], v[112:113]
	s_delay_alu instid0(VALU_DEP_4) | instskip(NEXT) | instid1(VALU_DEP_4)
	v_add_f64 v[16:17], v[16:17], v[98:99]
	v_add_f64 v[98:99], v[96:97], v[14:15]
	v_mul_f64 v[14:15], v[153:154], s[28:29]
	v_mul_f64 v[112:113], v[0:1], s[22:23]
	v_add_f64 v[30:31], v[30:31], v[28:29]
	v_fma_f64 v[28:29], v[171:172], s[0:1], -v[114:115]
	v_add_f64 v[96:97], v[100:101], v[16:17]
	v_fma_f64 v[16:17], v[155:156], s[0:1], v[14:15]
	v_fma_f64 v[100:101], v[159:160], s[0:1], -v[104:105]
	v_mul_f64 v[114:115], v[3:4], s[22:23]
	v_fma_f64 v[14:15], v[155:156], s[0:1], -v[14:15]
	v_add_f64 v[28:29], v[28:29], v[106:107]
	v_mul_f64 v[106:107], v[10:11], s[26:27]
	v_add_f64 v[16:17], v[16:17], v[108:109]
	v_mul_f64 v[108:109], v[12:13], s[26:27]
	v_add_f64 v[100:101], v[100:101], v[126:127]
	v_add_f64 v[14:15], v[14:15], v[128:129]
	v_mul_f64 v[128:129], v[0:1], s[18:19]
	v_fma_f64 v[102:103], v[161:162], s[14:15], v[106:107]
	s_delay_alu instid0(VALU_DEP_1) | instskip(SKIP_1) | instid1(VALU_DEP_1)
	v_add_f64 v[16:17], v[102:103], v[16:17]
	v_fma_f64 v[102:103], v[163:164], s[14:15], -v[108:109]
	v_add_f64 v[100:101], v[102:103], v[100:101]
	v_fma_f64 v[102:103], v[165:166], s[12:13], v[112:113]
	s_delay_alu instid0(VALU_DEP_1) | instskip(SKIP_1) | instid1(VALU_DEP_1)
	v_add_f64 v[16:17], v[102:103], v[16:17]
	v_fma_f64 v[102:103], v[167:168], s[12:13], -v[114:115]
	v_add_f64 v[100:101], v[102:103], v[100:101]
	v_fma_f64 v[102:103], v[169:170], s[2:3], v[18:19]
	v_fma_f64 v[18:19], v[169:170], s[2:3], -v[18:19]
	s_delay_alu instid0(VALU_DEP_2) | instskip(SKIP_2) | instid1(VALU_DEP_2)
	v_add_f64 v[102:103], v[102:103], v[16:17]
	v_fma_f64 v[16:17], v[171:172], s[2:3], -v[42:43]
	v_fma_f64 v[42:43], v[171:172], s[2:3], v[42:43]
	v_add_f64 v[100:101], v[16:17], v[100:101]
	v_fma_f64 v[16:17], v[159:160], s[0:1], v[104:105]
	v_fma_f64 v[104:105], v[161:162], s[14:15], -v[106:107]
	s_delay_alu instid0(VALU_DEP_2) | instskip(NEXT) | instid1(VALU_DEP_2)
	v_add_f64 v[16:17], v[16:17], v[118:119]
	v_add_f64 v[14:15], v[104:105], v[14:15]
	v_fma_f64 v[104:105], v[163:164], s[14:15], v[108:109]
	v_fma_f64 v[108:109], v[161:162], s[2:3], v[50:51]
	s_delay_alu instid0(VALU_DEP_2) | instskip(SKIP_3) | instid1(VALU_DEP_3)
	v_add_f64 v[16:17], v[104:105], v[16:17]
	v_fma_f64 v[104:105], v[165:166], s[12:13], -v[112:113]
	v_mul_f64 v[112:113], v[0:1], s[26:27]
	v_mul_f64 v[0:1], v[0:1], s[28:29]
	v_add_f64 v[14:15], v[104:105], v[14:15]
	v_fma_f64 v[104:105], v[167:168], s[12:13], v[114:115]
	v_mul_f64 v[114:115], v[3:4], s[26:27]
	s_delay_alu instid0(VALU_DEP_3) | instskip(NEXT) | instid1(VALU_DEP_3)
	v_add_f64 v[106:107], v[18:19], v[14:15]
	v_add_f64 v[16:17], v[104:105], v[16:17]
	v_mul_f64 v[14:15], v[153:154], s[34:35]
	v_mul_f64 v[18:19], v[157:158], s[34:35]
	s_delay_alu instid0(VALU_DEP_3) | instskip(NEXT) | instid1(VALU_DEP_3)
	v_add_f64 v[104:105], v[42:43], v[16:17]
	v_fma_f64 v[16:17], v[155:156], s[12:13], v[14:15]
	s_delay_alu instid0(VALU_DEP_3) | instskip(SKIP_2) | instid1(VALU_DEP_4)
	v_fma_f64 v[42:43], v[159:160], s[12:13], -v[18:19]
	v_fma_f64 v[14:15], v[155:156], s[12:13], -v[14:15]
	v_fma_f64 v[18:19], v[159:160], s[12:13], v[18:19]
	v_add_f64 v[16:17], v[16:17], v[110:111]
	s_delay_alu instid0(VALU_DEP_4) | instskip(NEXT) | instid1(VALU_DEP_4)
	v_add_f64 v[42:43], v[42:43], v[130:131]
	v_add_f64 v[14:15], v[14:15], v[140:141]
	s_delay_alu instid0(VALU_DEP_4) | instskip(SKIP_4) | instid1(VALU_DEP_1)
	v_add_f64 v[18:19], v[18:19], v[120:121]
	v_mul_f64 v[130:131], v[3:4], s[18:19]
	v_mul_f64 v[3:4], v[3:4], s[28:29]
	v_add_f64 v[16:17], v[108:109], v[16:17]
	v_fma_f64 v[108:109], v[163:164], s[2:3], -v[58:59]
	v_add_f64 v[42:43], v[108:109], v[42:43]
	v_fma_f64 v[108:109], v[165:166], s[14:15], v[112:113]
	s_delay_alu instid0(VALU_DEP_1) | instskip(SKIP_1) | instid1(VALU_DEP_1)
	v_add_f64 v[16:17], v[108:109], v[16:17]
	v_fma_f64 v[108:109], v[167:168], s[14:15], -v[114:115]
	v_add_f64 v[42:43], v[108:109], v[42:43]
	v_fma_f64 v[108:109], v[169:170], s[10:11], v[116:117]
	s_delay_alu instid0(VALU_DEP_1) | instskip(SKIP_1) | instid1(VALU_DEP_1)
	v_add_f64 v[110:111], v[108:109], v[16:17]
	v_mul_f64 v[16:17], v[8:9], s[18:19]
	v_fma_f64 v[108:109], v[171:172], s[10:11], -v[16:17]
	v_fma_f64 v[16:17], v[171:172], s[10:11], v[16:17]
	s_delay_alu instid0(VALU_DEP_2) | instskip(SKIP_3) | instid1(VALU_DEP_3)
	v_add_f64 v[108:109], v[108:109], v[42:43]
	v_fma_f64 v[42:43], v[161:162], s[2:3], -v[50:51]
	v_mul_f64 v[50:51], v[10:11], s[20:21]
	v_mul_f64 v[10:11], v[10:11], s[34:35]
	v_add_f64 v[14:15], v[42:43], v[14:15]
	v_fma_f64 v[42:43], v[163:164], s[2:3], v[58:59]
	s_delay_alu instid0(VALU_DEP_4) | instskip(NEXT) | instid1(VALU_DEP_4)
	v_fma_f64 v[58:59], v[161:162], s[0:1], -v[50:51]
	v_fma_f64 v[126:127], v[161:162], s[12:13], -v[10:11]
	v_fma_f64 v[10:11], v[161:162], s[12:13], v[10:11]
	s_delay_alu instid0(VALU_DEP_4) | instskip(SKIP_1) | instid1(VALU_DEP_1)
	v_add_f64 v[18:19], v[42:43], v[18:19]
	v_fma_f64 v[42:43], v[165:166], s[14:15], -v[112:113]
	v_add_f64 v[14:15], v[42:43], v[14:15]
	v_fma_f64 v[42:43], v[167:168], s[14:15], v[114:115]
	s_delay_alu instid0(VALU_DEP_1) | instskip(SKIP_1) | instid1(VALU_DEP_2)
	v_add_f64 v[18:19], v[42:43], v[18:19]
	v_fma_f64 v[42:43], v[169:170], s[10:11], -v[116:117]
	v_add_f64 v[112:113], v[16:17], v[18:19]
	s_delay_alu instid0(VALU_DEP_2) | instskip(SKIP_2) | instid1(VALU_DEP_2)
	v_add_f64 v[114:115], v[42:43], v[14:15]
	v_mul_f64 v[14:15], v[153:154], s[24:25]
	v_mul_f64 v[18:19], v[157:158], s[24:25]
	v_fma_f64 v[16:17], v[155:156], s[2:3], -v[14:15]
	s_delay_alu instid0(VALU_DEP_2) | instskip(NEXT) | instid1(VALU_DEP_2)
	v_fma_f64 v[42:43], v[159:160], s[2:3], v[18:19]
	v_add_f64 v[16:17], v[16:17], v[144:145]
	s_delay_alu instid0(VALU_DEP_2) | instskip(SKIP_2) | instid1(VALU_DEP_4)
	v_add_f64 v[42:43], v[42:43], v[136:137]
	v_mul_f64 v[136:137], v[6:7], s[22:23]
	v_mul_f64 v[6:7], v[6:7], s[16:17]
	v_add_f64 v[16:17], v[58:59], v[16:17]
	v_mul_f64 v[58:59], v[12:13], s[20:21]
	v_mul_f64 v[12:13], v[12:13], s[34:35]
	s_delay_alu instid0(VALU_DEP_2) | instskip(NEXT) | instid1(VALU_DEP_1)
	v_fma_f64 v[116:117], v[163:164], s[0:1], v[58:59]
	v_add_f64 v[42:43], v[116:117], v[42:43]
	v_fma_f64 v[116:117], v[165:166], s[10:11], -v[128:129]
	s_delay_alu instid0(VALU_DEP_1) | instskip(SKIP_1) | instid1(VALU_DEP_1)
	v_add_f64 v[16:17], v[116:117], v[16:17]
	v_fma_f64 v[116:117], v[167:168], s[10:11], v[130:131]
	v_add_f64 v[42:43], v[116:117], v[42:43]
	v_fma_f64 v[116:117], v[169:170], s[12:13], -v[136:137]
	s_delay_alu instid0(VALU_DEP_1) | instskip(SKIP_2) | instid1(VALU_DEP_2)
	v_add_f64 v[118:119], v[116:117], v[16:17]
	v_mul_f64 v[16:17], v[8:9], s[22:23]
	v_mul_f64 v[8:9], v[8:9], s[16:17]
	v_fma_f64 v[116:117], v[171:172], s[12:13], v[16:17]
	s_delay_alu instid0(VALU_DEP_1) | instskip(SKIP_1) | instid1(VALU_DEP_1)
	v_add_f64 v[116:117], v[116:117], v[42:43]
	v_mul_f64 v[42:43], v[153:154], s[18:19]
	v_fma_f64 v[120:121], v[155:156], s[10:11], -v[42:43]
	v_fma_f64 v[42:43], v[155:156], s[10:11], v[42:43]
	s_delay_alu instid0(VALU_DEP_2) | instskip(SKIP_1) | instid1(VALU_DEP_3)
	v_add_f64 v[120:121], v[120:121], v[122:123]
	v_fma_f64 v[122:123], v[159:160], s[10:11], v[124:125]
	v_add_f64 v[42:43], v[42:43], v[66:67]
	v_fma_f64 v[66:67], v[159:160], s[10:11], -v[124:125]
	s_delay_alu instid0(VALU_DEP_4) | instskip(NEXT) | instid1(VALU_DEP_4)
	v_add_f64 v[120:121], v[126:127], v[120:121]
	v_add_f64 v[122:123], v[122:123], v[138:139]
	v_fma_f64 v[126:127], v[163:164], s[12:13], v[12:13]
	s_delay_alu instid0(VALU_DEP_4) | instskip(SKIP_2) | instid1(VALU_DEP_4)
	v_add_f64 v[66:67], v[66:67], v[151:152]
	v_fma_f64 v[12:13], v[163:164], s[12:13], -v[12:13]
	v_add_f64 v[10:11], v[10:11], v[42:43]
	v_add_f64 v[122:123], v[126:127], v[122:123]
	v_fma_f64 v[126:127], v[165:166], s[0:1], -v[0:1]
	s_delay_alu instid0(VALU_DEP_4) | instskip(SKIP_1) | instid1(VALU_DEP_3)
	v_add_f64 v[12:13], v[12:13], v[66:67]
	v_fma_f64 v[0:1], v[165:166], s[0:1], v[0:1]
	v_add_f64 v[120:121], v[126:127], v[120:121]
	v_fma_f64 v[126:127], v[167:168], s[0:1], v[3:4]
	v_fma_f64 v[3:4], v[167:168], s[0:1], -v[3:4]
	s_delay_alu instid0(VALU_DEP_4) | instskip(SKIP_1) | instid1(VALU_DEP_4)
	v_add_f64 v[0:1], v[0:1], v[10:11]
	v_fma_f64 v[10:11], v[165:166], s[10:11], v[128:129]
	v_add_f64 v[126:127], v[126:127], v[122:123]
	v_fma_f64 v[122:123], v[169:170], s[14:15], -v[6:7]
	v_add_f64 v[3:4], v[3:4], v[12:13]
	v_fma_f64 v[6:7], v[169:170], s[14:15], v[6:7]
	v_fma_f64 v[12:13], v[167:168], s[10:11], -v[130:131]
	s_delay_alu instid0(VALU_DEP_4) | instskip(SKIP_2) | instid1(VALU_DEP_2)
	v_add_f64 v[122:123], v[122:123], v[120:121]
	v_fma_f64 v[120:121], v[171:172], s[14:15], v[8:9]
	v_fma_f64 v[8:9], v[171:172], s[14:15], -v[8:9]
	v_add_f64 v[120:121], v[120:121], v[126:127]
	v_add_f64 v[126:127], v[6:7], v[0:1]
	s_delay_alu instid0(VALU_DEP_3) | instskip(SKIP_4) | instid1(VALU_DEP_4)
	v_add_f64 v[124:125], v[8:9], v[3:4]
	v_add_f64 v[0:1], v[132:133], v[56:57]
	;; [unrolled: 1-line block ×3, first 2 shown]
	v_fma_f64 v[6:7], v[161:162], s[0:1], v[50:51]
	v_fma_f64 v[8:9], v[163:164], s[0:1], -v[58:59]
	v_add_f64 v[0:1], v[0:1], v[52:53]
	s_delay_alu instid0(VALU_DEP_4) | instskip(NEXT) | instid1(VALU_DEP_2)
	v_add_f64 v[3:4], v[3:4], v[64:65]
	v_add_f64 v[0:1], v[0:1], v[78:79]
	s_delay_alu instid0(VALU_DEP_2) | instskip(NEXT) | instid1(VALU_DEP_2)
	v_add_f64 v[3:4], v[3:4], v[76:77]
	v_add_f64 v[0:1], v[0:1], v[32:33]
	s_delay_alu instid0(VALU_DEP_2) | instskip(NEXT) | instid1(VALU_DEP_2)
	v_add_f64 v[3:4], v[3:4], v[24:25]
	v_add_f64 v[0:1], v[0:1], v[34:35]
	s_delay_alu instid0(VALU_DEP_2) | instskip(NEXT) | instid1(VALU_DEP_2)
	v_add_f64 v[3:4], v[3:4], v[26:27]
	v_add_f64 v[0:1], v[0:1], v[62:63]
	s_delay_alu instid0(VALU_DEP_2) | instskip(NEXT) | instid1(VALU_DEP_2)
	v_add_f64 v[3:4], v[3:4], v[60:61]
	v_add_f64 v[0:1], v[0:1], v[38:39]
	s_delay_alu instid0(VALU_DEP_2) | instskip(NEXT) | instid1(VALU_DEP_2)
	v_add_f64 v[3:4], v[3:4], v[36:37]
	v_add_f64 v[0:1], v[0:1], v[48:49]
	s_delay_alu instid0(VALU_DEP_2) | instskip(NEXT) | instid1(VALU_DEP_2)
	v_add_f64 v[3:4], v[3:4], v[44:45]
	v_add_f64 v[26:27], v[0:1], v[40:41]
	s_delay_alu instid0(VALU_DEP_2) | instskip(SKIP_2) | instid1(VALU_DEP_2)
	v_add_f64 v[24:25], v[3:4], v[46:47]
	v_fma_f64 v[0:1], v[155:156], s[2:3], v[14:15]
	v_fma_f64 v[3:4], v[159:160], s[2:3], -v[18:19]
	v_add_f64 v[0:1], v[0:1], v[142:143]
	s_delay_alu instid0(VALU_DEP_2) | instskip(NEXT) | instid1(VALU_DEP_2)
	v_add_f64 v[3:4], v[3:4], v[149:150]
	v_add_f64 v[0:1], v[6:7], v[0:1]
	s_delay_alu instid0(VALU_DEP_2) | instskip(SKIP_2) | instid1(VALU_DEP_4)
	v_add_f64 v[3:4], v[8:9], v[3:4]
	v_fma_f64 v[6:7], v[169:170], s[12:13], v[136:137]
	v_fma_f64 v[8:9], v[171:172], s[12:13], -v[16:17]
	v_add_f64 v[0:1], v[10:11], v[0:1]
	s_delay_alu instid0(VALU_DEP_4) | instskip(NEXT) | instid1(VALU_DEP_2)
	v_add_f64 v[3:4], v[12:13], v[3:4]
	v_add_f64 v[34:35], v[6:7], v[0:1]
	s_delay_alu instid0(VALU_DEP_2) | instskip(SKIP_2) | instid1(VALU_DEP_2)
	v_add_f64 v[32:33], v[8:9], v[3:4]
	v_lshrrev_b32_e32 v0, 4, v5
	v_and_b32_e32 v1, 15, v5
	v_mul_u32_u24_e32 v0, 0xb0, v0
	s_delay_alu instid0(VALU_DEP_1) | instskip(NEXT) | instid1(VALU_DEP_1)
	v_or_b32_e32 v0, v0, v1
	v_lshlrev_b32_e32 v0, 4, v0
	ds_store_b128 v0, v[104:107] offset:1024
	ds_store_b128 v0, v[96:99] offset:1280
	;; [unrolled: 1-line block ×9, first 2 shown]
	ds_store_b128 v0, v[24:27]
	ds_store_b128 v0, v[32:35] offset:2560
.LBB0_45:
	s_or_b32 exec_lo, exec_lo, s30
	s_waitcnt lgkmcnt(0)
	s_barrier
	buffer_gl0_inv
	ds_load_b128 v[24:27], v2 offset:2816
	ds_load_b128 v[28:31], v2 offset:5632
	;; [unrolled: 1-line block ×6, first 2 shown]
	s_mov_b32 s0, 0x37e14327
	s_mov_b32 s1, 0x3fe948f6
	;; [unrolled: 1-line block ×10, first 2 shown]
	v_mad_u64_u32 v[54:55], null, s4, v5, 0
	s_waitcnt lgkmcnt(5)
	v_mul_f64 v[0:1], v[74:75], v[26:27]
	v_mul_f64 v[3:4], v[74:75], v[24:25]
	s_waitcnt lgkmcnt(4)
	v_mul_f64 v[6:7], v[70:71], v[30:31]
	v_mul_f64 v[8:9], v[70:71], v[28:29]
	s_waitcnt lgkmcnt(3)
	v_mul_f64 v[10:11], v[82:83], v[34:35]
	v_mul_f64 v[12:13], v[82:83], v[32:33]
	s_waitcnt lgkmcnt(2)
	v_mul_f64 v[14:15], v[94:95], v[38:39]
	v_mul_f64 v[16:17], v[94:95], v[36:37]
	s_waitcnt lgkmcnt(1)
	v_mul_f64 v[18:19], v[90:91], v[42:43]
	v_mul_f64 v[48:49], v[90:91], v[40:41]
	s_waitcnt lgkmcnt(0)
	v_mul_f64 v[50:51], v[86:87], v[46:47]
	v_mul_f64 v[52:53], v[86:87], v[44:45]
	v_fma_f64 v[0:1], v[72:73], v[24:25], v[0:1]
	v_fma_f64 v[3:4], v[72:73], v[26:27], -v[3:4]
	v_fma_f64 v[6:7], v[68:69], v[28:29], v[6:7]
	v_fma_f64 v[8:9], v[68:69], v[30:31], -v[8:9]
	;; [unrolled: 2-line block ×6, first 2 shown]
	v_add_f64 v[30:31], v[0:1], v[10:11]
	v_add_f64 v[32:33], v[3:4], v[12:13]
	;; [unrolled: 1-line block ×4, first 2 shown]
	v_add_f64 v[6:7], v[6:7], -v[14:15]
	v_add_f64 v[8:9], v[8:9], -v[16:17]
	v_add_f64 v[38:39], v[18:19], v[26:27]
	v_add_f64 v[40:41], v[24:25], v[28:29]
	v_add_f64 v[14:15], v[26:27], -v[18:19]
	v_add_f64 v[16:17], v[28:29], -v[24:25]
	;; [unrolled: 1-line block ×4, first 2 shown]
	ds_load_b128 v[24:27], v2
	v_add_f64 v[10:11], v[34:35], v[30:31]
	v_add_f64 v[12:13], v[36:37], v[32:33]
	v_add_f64 v[18:19], v[30:31], -v[38:39]
	v_add_f64 v[28:29], v[32:33], -v[40:41]
	;; [unrolled: 1-line block ×10, first 2 shown]
	v_add_f64 v[6:7], v[14:15], v[6:7]
	v_add_f64 v[8:9], v[16:17], v[8:9]
	v_add_f64 v[14:15], v[0:1], -v[14:15]
	v_add_f64 v[16:17], v[3:4], -v[16:17]
	v_add_f64 v[10:11], v[38:39], v[10:11]
	v_add_f64 v[12:13], v[40:41], v[12:13]
	v_mul_f64 v[18:19], v[18:19], s[0:1]
	v_mul_f64 v[28:29], v[28:29], s[0:1]
	s_mov_b32 s0, 0x429ad128
	v_mul_f64 v[34:35], v[42:43], s[2:3]
	v_mul_f64 v[36:37], v[44:45], s[2:3]
	;; [unrolled: 1-line block ×4, first 2 shown]
	s_mov_b32 s1, 0xbfebfeb5
	s_mov_b32 s10, 0xaaaaaaaa
	v_mul_f64 v[46:47], v[50:51], s[0:1]
	v_mul_f64 v[48:49], v[52:53], s[0:1]
	s_mov_b32 s11, 0xbff2aaaa
	v_add_f64 v[0:1], v[6:7], v[0:1]
	v_add_f64 v[3:4], v[8:9], v[3:4]
	s_waitcnt lgkmcnt(0)
	v_add_f64 v[24:25], v[24:25], v[10:11]
	v_add_f64 v[26:27], v[26:27], v[12:13]
	v_fma_f64 v[6:7], v[42:43], s[2:3], v[18:19]
	v_fma_f64 v[8:9], v[44:45], s[2:3], v[28:29]
	s_mov_b32 s2, 0x606a63be
	v_fma_f64 v[34:35], v[30:31], s[12:13], -v[34:35]
	v_fma_f64 v[36:37], v[32:33], s[12:13], -v[36:37]
	s_mov_b32 s13, 0xbfe77f67
	v_fma_f64 v[42:43], v[14:15], s[14:15], v[38:39]
	v_fma_f64 v[44:45], v[16:17], s[14:15], v[40:41]
	s_mov_b32 s15, 0x3fd5d0dc
	v_fma_f64 v[38:39], v[50:51], s[0:1], -v[38:39]
	v_fma_f64 v[40:41], v[52:53], s[0:1], -v[40:41]
	;; [unrolled: 1-line block ×6, first 2 shown]
	s_mov_b32 s0, 0x37c3f68c
	s_mov_b32 s1, 0xbfdc38aa
	;; [unrolled: 1-line block ×3, first 2 shown]
	v_fma_f64 v[10:11], v[10:11], s[10:11], v[24:25]
	v_fma_f64 v[12:13], v[12:13], s[10:11], v[26:27]
	s_mul_i32 s11, s5, 0xfffffe48
	s_mul_i32 s10, s4, 0xfffffe48
	v_fma_f64 v[50:51], v[0:1], s[0:1], v[42:43]
	v_fma_f64 v[48:49], v[3:4], s[0:1], v[44:45]
	;; [unrolled: 1-line block ×6, first 2 shown]
	s_mul_i32 s0, s5, 0x268
	s_mul_hi_u32 s1, s4, 0x268
	v_add_f64 v[6:7], v[6:7], v[10:11]
	v_add_f64 v[8:9], v[8:9], v[12:13]
	;; [unrolled: 1-line block ×7, first 2 shown]
	v_add_f64 v[30:31], v[8:9], -v[50:51]
	v_add_f64 v[32:33], v[3:4], v[14:15]
	v_add_f64 v[34:35], v[16:17], -v[0:1]
	v_add_f64 v[36:37], v[10:11], -v[40:41]
	v_add_f64 v[38:39], v[42:43], v[12:13]
	v_add_f64 v[40:41], v[40:41], v[10:11]
	v_add_f64 v[42:43], v[12:13], -v[42:43]
	v_add_f64 v[44:45], v[14:15], -v[3:4]
	v_add_f64 v[46:47], v[0:1], v[16:17]
	v_add_f64 v[48:49], v[6:7], -v[48:49]
	v_add_f64 v[50:51], v[50:51], v[8:9]
	ds_store_b128 v2, v[24:27]
	ds_store_b128 v2, v[28:31] offset:2816
	ds_store_b128 v2, v[32:35] offset:5632
	ds_store_b128 v2, v[36:39] offset:8448
	ds_store_b128 v2, v[40:43] offset:11264
	ds_store_b128 v2, v[44:47] offset:14080
	ds_store_b128 v2, v[48:51] offset:16896
	s_waitcnt lgkmcnt(0)
	s_barrier
	buffer_gl0_inv
	ds_load_b128 v[24:27], v2
	ds_load_b128 v[28:31], v2 offset:9856
	ds_load_b128 v[32:35], v2 offset:2816
	;; [unrolled: 1-line block ×5, first 2 shown]
	s_clause 0x2
	scratch_load_b128 v[57:60], off, off offset:12
	scratch_load_b64 v[52:53], off, off offset:4
	scratch_load_b128 v[63:66], off, off offset:52
	s_waitcnt lgkmcnt(0)
	v_mul_f64 v[50:51], v[22:23], v[46:47]
	v_mul_f64 v[22:23], v[22:23], v[44:45]
	s_waitcnt vmcnt(2)
	v_mul_f64 v[0:1], v[59:60], v[26:27]
	v_mul_f64 v[3:4], v[59:60], v[24:25]
	scratch_load_b128 v[59:62], off, off offset:36 ; 16-byte Folded Reload
	s_waitcnt vmcnt(1)
	v_mul_f64 v[6:7], v[65:66], v[30:31]
	v_mul_f64 v[8:9], v[65:66], v[28:29]
	scratch_load_b128 v[65:68], off, off offset:68 ; 16-byte Folded Reload
	v_mov_b32_e32 v56, v52
	s_delay_alu instid0(VALU_DEP_1) | instskip(SKIP_3) | instid1(VALU_DEP_3)
	v_mad_u64_u32 v[52:53], null, s6, v56, 0
	s_mul_i32 s6, s4, 0x268
	v_fma_f64 v[0:1], v[57:58], v[24:25], v[0:1]
	v_fma_f64 v[24:25], v[57:58], v[26:27], -v[3:4]
	v_mov_b32_e32 v3, v53
	v_fma_f64 v[26:27], v[63:64], v[28:29], v[6:7]
	v_fma_f64 v[28:29], v[63:64], v[30:31], -v[8:9]
	v_mov_b32_e32 v4, v55
	s_delay_alu instid0(VALU_DEP_1) | instskip(SKIP_1) | instid1(VALU_DEP_1)
	v_mad_u64_u32 v[6:7], null, s7, v56, v[3:4]
	s_add_i32 s7, s1, s0
	v_mov_b32_e32 v53, v6
	v_mad_u64_u32 v[7:8], null, s5, v5, v[4:5]
	s_mul_hi_u32 s5, s4, 0xfffffe48
	s_delay_alu instid0(SALU_CYCLE_1) | instskip(SKIP_2) | instid1(VALU_DEP_1)
	s_sub_i32 s1, s5, s4
	s_lshl_b64 s[4:5], s[6:7], 4
	s_add_i32 s11, s1, s11
	v_mov_b32_e32 v55, v7
	s_lshl_b64 s[6:7], s[10:11], 4
	v_mul_f64 v[3:4], v[0:1], s[2:3]
	v_mul_f64 v[5:6], v[24:25], s[2:3]
	;; [unrolled: 1-line block ×3, first 2 shown]
	s_waitcnt vmcnt(1)
	v_mul_f64 v[10:11], v[61:62], v[34:35]
	v_mul_f64 v[12:13], v[61:62], v[32:33]
	s_waitcnt vmcnt(0)
	v_mul_f64 v[14:15], v[67:68], v[38:39]
	v_mul_f64 v[16:17], v[67:68], v[36:37]
	scratch_load_b128 v[67:70], off, off offset:84 ; 16-byte Folded Reload
	v_fma_f64 v[30:31], v[59:60], v[32:33], v[10:11]
	v_fma_f64 v[32:33], v[59:60], v[34:35], -v[12:13]
	v_mul_f64 v[9:10], v[28:29], s[2:3]
	v_fma_f64 v[34:35], v[65:66], v[36:37], v[14:15]
	v_fma_f64 v[36:37], v[65:66], v[38:39], -v[16:17]
	v_mul_f64 v[11:12], v[30:31], s[2:3]
	v_mul_f64 v[13:14], v[32:33], s[2:3]
	s_delay_alu instid0(VALU_DEP_4) | instskip(SKIP_3) | instid1(VALU_DEP_2)
	v_mul_f64 v[15:16], v[34:35], s[2:3]
	s_waitcnt vmcnt(0)
	v_mul_f64 v[18:19], v[69:70], v[42:43]
	v_mul_f64 v[48:49], v[69:70], v[40:41]
	v_fma_f64 v[38:39], v[67:68], v[40:41], v[18:19]
	s_delay_alu instid0(VALU_DEP_2)
	v_fma_f64 v[40:41], v[67:68], v[42:43], -v[48:49]
	v_fma_f64 v[42:43], v[20:21], v[44:45], v[50:51]
	v_fma_f64 v[44:45], v[20:21], v[46:47], -v[22:23]
	v_lshlrev_b64 v[46:47], 4, v[52:53]
	v_lshlrev_b64 v[48:49], 4, v[54:55]
	v_mul_f64 v[17:18], v[36:37], s[2:3]
	s_delay_alu instid0(VALU_DEP_3) | instskip(NEXT) | instid1(VALU_DEP_1)
	v_add_co_u32 v0, s0, s8, v46
	v_add_co_ci_u32_e64 v1, s0, s9, v47, s0
	s_delay_alu instid0(VALU_DEP_2) | instskip(NEXT) | instid1(VALU_DEP_1)
	v_add_co_u32 v27, s0, v0, v48
	v_add_co_ci_u32_e64 v28, s0, v1, v49, s0
	s_delay_alu instid0(VALU_DEP_2) | instskip(NEXT) | instid1(VALU_DEP_1)
	;; [unrolled: 3-line block ×5, first 2 shown]
	v_add_co_u32 v35, s0, v33, s6
	v_add_co_ci_u32_e64 v36, s0, s7, v34, s0
	v_mul_f64 v[19:20], v[38:39], s[2:3]
	v_mul_f64 v[21:22], v[40:41], s[2:3]
	;; [unrolled: 1-line block ×4, first 2 shown]
	v_add_co_u32 v0, s0, v35, s4
	s_delay_alu instid0(VALU_DEP_1)
	v_add_co_ci_u32_e64 v1, s0, s5, v36, s0
	s_clause 0x4
	global_store_b128 v[27:28], v[3:6], off
	global_store_b128 v[29:30], v[7:10], off
	;; [unrolled: 1-line block ×6, first 2 shown]
	s_and_b32 exec_lo, exec_lo, vcc_lo
	s_cbranch_execz .LBB0_47
; %bb.46:
	scratch_load_b64 v[3:4], off, off offset:28 ; 8-byte Folded Reload
	v_add_co_u32 v0, vcc_lo, v0, s6
	v_add_co_ci_u32_e32 v1, vcc_lo, s7, v1, vcc_lo
	s_waitcnt vmcnt(0)
	s_clause 0x1
	global_load_b128 v[3:6], v[3:4], off offset:256
	global_load_b128 v[7:10], v[147:148], off offset:1920
	ds_load_b128 v[11:14], v2 offset:8448
	ds_load_b128 v[15:18], v2 offset:18304
	s_waitcnt vmcnt(1) lgkmcnt(1)
	v_mul_f64 v[19:20], v[13:14], v[5:6]
	v_mul_f64 v[5:6], v[11:12], v[5:6]
	s_waitcnt vmcnt(0) lgkmcnt(0)
	v_mul_f64 v[21:22], v[17:18], v[9:10]
	v_mul_f64 v[9:10], v[15:16], v[9:10]
	s_delay_alu instid0(VALU_DEP_4) | instskip(NEXT) | instid1(VALU_DEP_4)
	v_fma_f64 v[11:12], v[11:12], v[3:4], v[19:20]
	v_fma_f64 v[4:5], v[3:4], v[13:14], -v[5:6]
	s_delay_alu instid0(VALU_DEP_4) | instskip(NEXT) | instid1(VALU_DEP_4)
	v_fma_f64 v[13:14], v[15:16], v[7:8], v[21:22]
	v_fma_f64 v[8:9], v[7:8], v[17:18], -v[9:10]
	v_add_co_u32 v10, vcc_lo, v0, s4
	v_mul_f64 v[2:3], v[11:12], s[2:3]
	v_mul_f64 v[4:5], v[4:5], s[2:3]
	;; [unrolled: 1-line block ×4, first 2 shown]
	v_add_co_ci_u32_e32 v11, vcc_lo, s5, v1, vcc_lo
	global_store_b128 v[0:1], v[2:5], off
	global_store_b128 v[10:11], v[6:9], off
.LBB0_47:
	s_nop 0
	s_sendmsg sendmsg(MSG_DEALLOC_VGPRS)
	s_endpgm
	.section	.rodata,"a",@progbits
	.p2align	6, 0x0
	.amdhsa_kernel bluestein_single_back_len1232_dim1_dp_op_CI_CI
		.amdhsa_group_segment_fixed_size 19712
		.amdhsa_private_segment_fixed_size 152
		.amdhsa_kernarg_size 104
		.amdhsa_user_sgpr_count 15
		.amdhsa_user_sgpr_dispatch_ptr 0
		.amdhsa_user_sgpr_queue_ptr 0
		.amdhsa_user_sgpr_kernarg_segment_ptr 1
		.amdhsa_user_sgpr_dispatch_id 0
		.amdhsa_user_sgpr_private_segment_size 0
		.amdhsa_wavefront_size32 1
		.amdhsa_uses_dynamic_stack 0
		.amdhsa_enable_private_segment 1
		.amdhsa_system_sgpr_workgroup_id_x 1
		.amdhsa_system_sgpr_workgroup_id_y 0
		.amdhsa_system_sgpr_workgroup_id_z 0
		.amdhsa_system_sgpr_workgroup_info 0
		.amdhsa_system_vgpr_workitem_id 0
		.amdhsa_next_free_vgpr 256
		.amdhsa_next_free_sgpr 40
		.amdhsa_reserve_vcc 1
		.amdhsa_float_round_mode_32 0
		.amdhsa_float_round_mode_16_64 0
		.amdhsa_float_denorm_mode_32 3
		.amdhsa_float_denorm_mode_16_64 3
		.amdhsa_dx10_clamp 1
		.amdhsa_ieee_mode 1
		.amdhsa_fp16_overflow 0
		.amdhsa_workgroup_processor_mode 1
		.amdhsa_memory_ordered 1
		.amdhsa_forward_progress 0
		.amdhsa_shared_vgpr_count 0
		.amdhsa_exception_fp_ieee_invalid_op 0
		.amdhsa_exception_fp_denorm_src 0
		.amdhsa_exception_fp_ieee_div_zero 0
		.amdhsa_exception_fp_ieee_overflow 0
		.amdhsa_exception_fp_ieee_underflow 0
		.amdhsa_exception_fp_ieee_inexact 0
		.amdhsa_exception_int_div_zero 0
	.end_amdhsa_kernel
	.text
.Lfunc_end0:
	.size	bluestein_single_back_len1232_dim1_dp_op_CI_CI, .Lfunc_end0-bluestein_single_back_len1232_dim1_dp_op_CI_CI
                                        ; -- End function
	.section	.AMDGPU.csdata,"",@progbits
; Kernel info:
; codeLenInByte = 16468
; NumSgprs: 42
; NumVgprs: 256
; ScratchSize: 152
; MemoryBound: 0
; FloatMode: 240
; IeeeMode: 1
; LDSByteSize: 19712 bytes/workgroup (compile time only)
; SGPRBlocks: 5
; VGPRBlocks: 31
; NumSGPRsForWavesPerEU: 42
; NumVGPRsForWavesPerEU: 256
; Occupancy: 5
; WaveLimiterHint : 1
; COMPUTE_PGM_RSRC2:SCRATCH_EN: 1
; COMPUTE_PGM_RSRC2:USER_SGPR: 15
; COMPUTE_PGM_RSRC2:TRAP_HANDLER: 0
; COMPUTE_PGM_RSRC2:TGID_X_EN: 1
; COMPUTE_PGM_RSRC2:TGID_Y_EN: 0
; COMPUTE_PGM_RSRC2:TGID_Z_EN: 0
; COMPUTE_PGM_RSRC2:TIDIG_COMP_CNT: 0
	.text
	.p2alignl 7, 3214868480
	.fill 96, 4, 3214868480
	.type	__hip_cuid_e26ece3f1a476ad0,@object ; @__hip_cuid_e26ece3f1a476ad0
	.section	.bss,"aw",@nobits
	.globl	__hip_cuid_e26ece3f1a476ad0
__hip_cuid_e26ece3f1a476ad0:
	.byte	0                               ; 0x0
	.size	__hip_cuid_e26ece3f1a476ad0, 1

	.ident	"AMD clang version 19.0.0git (https://github.com/RadeonOpenCompute/llvm-project roc-6.4.0 25133 c7fe45cf4b819c5991fe208aaa96edf142730f1d)"
	.section	".note.GNU-stack","",@progbits
	.addrsig
	.addrsig_sym __hip_cuid_e26ece3f1a476ad0
	.amdgpu_metadata
---
amdhsa.kernels:
  - .args:
      - .actual_access:  read_only
        .address_space:  global
        .offset:         0
        .size:           8
        .value_kind:     global_buffer
      - .actual_access:  read_only
        .address_space:  global
        .offset:         8
        .size:           8
        .value_kind:     global_buffer
      - .actual_access:  read_only
        .address_space:  global
        .offset:         16
        .size:           8
        .value_kind:     global_buffer
      - .actual_access:  read_only
        .address_space:  global
        .offset:         24
        .size:           8
        .value_kind:     global_buffer
      - .actual_access:  read_only
        .address_space:  global
        .offset:         32
        .size:           8
        .value_kind:     global_buffer
      - .offset:         40
        .size:           8
        .value_kind:     by_value
      - .address_space:  global
        .offset:         48
        .size:           8
        .value_kind:     global_buffer
      - .address_space:  global
        .offset:         56
        .size:           8
        .value_kind:     global_buffer
      - .address_space:  global
        .offset:         64
        .size:           8
        .value_kind:     global_buffer
      - .address_space:  global
        .offset:         72
        .size:           8
        .value_kind:     global_buffer
      - .offset:         80
        .size:           4
        .value_kind:     by_value
      - .address_space:  global
        .offset:         88
        .size:           8
        .value_kind:     global_buffer
      - .address_space:  global
        .offset:         96
        .size:           8
        .value_kind:     global_buffer
    .group_segment_fixed_size: 19712
    .kernarg_segment_align: 8
    .kernarg_segment_size: 104
    .language:       OpenCL C
    .language_version:
      - 2
      - 0
    .max_flat_workgroup_size: 176
    .name:           bluestein_single_back_len1232_dim1_dp_op_CI_CI
    .private_segment_fixed_size: 152
    .sgpr_count:     42
    .sgpr_spill_count: 0
    .symbol:         bluestein_single_back_len1232_dim1_dp_op_CI_CI.kd
    .uniform_work_group_size: 1
    .uses_dynamic_stack: false
    .vgpr_count:     256
    .vgpr_spill_count: 37
    .wavefront_size: 32
    .workgroup_processor_mode: 1
amdhsa.target:   amdgcn-amd-amdhsa--gfx1100
amdhsa.version:
  - 1
  - 2
...

	.end_amdgpu_metadata
